;; amdgpu-corpus repo=ROCm/rocFFT kind=compiled arch=gfx1201 opt=O3
	.text
	.amdgcn_target "amdgcn-amd-amdhsa--gfx1201"
	.amdhsa_code_object_version 6
	.protected	fft_rtc_fwd_len924_factors_2_2_3_7_11_wgs_44_tpt_44_halfLds_sp_op_CI_CI_unitstride_sbrr_C2R_dirReg ; -- Begin function fft_rtc_fwd_len924_factors_2_2_3_7_11_wgs_44_tpt_44_halfLds_sp_op_CI_CI_unitstride_sbrr_C2R_dirReg
	.globl	fft_rtc_fwd_len924_factors_2_2_3_7_11_wgs_44_tpt_44_halfLds_sp_op_CI_CI_unitstride_sbrr_C2R_dirReg
	.p2align	8
	.type	fft_rtc_fwd_len924_factors_2_2_3_7_11_wgs_44_tpt_44_halfLds_sp_op_CI_CI_unitstride_sbrr_C2R_dirReg,@function
fft_rtc_fwd_len924_factors_2_2_3_7_11_wgs_44_tpt_44_halfLds_sp_op_CI_CI_unitstride_sbrr_C2R_dirReg: ; @fft_rtc_fwd_len924_factors_2_2_3_7_11_wgs_44_tpt_44_halfLds_sp_op_CI_CI_unitstride_sbrr_C2R_dirReg
; %bb.0:
	s_clause 0x2
	s_load_b128 s[8:11], s[0:1], 0x0
	s_load_b128 s[4:7], s[0:1], 0x58
	;; [unrolled: 1-line block ×3, first 2 shown]
	v_mul_u32_u24_e32 v1, 0x5d2, v0
	v_mov_b32_e32 v3, 0
	s_delay_alu instid0(VALU_DEP_2) | instskip(NEXT) | instid1(VALU_DEP_1)
	v_lshrrev_b32_e32 v1, 16, v1
	v_add_nc_u32_e32 v5, ttmp9, v1
	v_mov_b32_e32 v1, 0
	v_mov_b32_e32 v2, 0
	;; [unrolled: 1-line block ×3, first 2 shown]
	s_wait_kmcnt 0x0
	v_cmp_lt_u64_e64 s2, s[10:11], 2
	s_delay_alu instid0(VALU_DEP_1)
	s_and_b32 vcc_lo, exec_lo, s2
	s_cbranch_vccnz .LBB0_8
; %bb.1:
	s_load_b64 s[2:3], s[0:1], 0x10
	v_mov_b32_e32 v1, 0
	v_mov_b32_e32 v2, 0
	s_add_nc_u64 s[16:17], s[14:15], 8
	s_add_nc_u64 s[18:19], s[12:13], 8
	s_mov_b64 s[20:21], 1
	s_delay_alu instid0(VALU_DEP_1)
	v_dual_mov_b32 v61, v2 :: v_dual_mov_b32 v60, v1
	s_wait_kmcnt 0x0
	s_add_nc_u64 s[22:23], s[2:3], 8
	s_mov_b32 s3, 0
.LBB0_2:                                ; =>This Inner Loop Header: Depth=1
	s_load_b64 s[24:25], s[22:23], 0x0
                                        ; implicit-def: $vgpr64_vgpr65
	s_mov_b32 s2, exec_lo
	s_wait_kmcnt 0x0
	v_or_b32_e32 v4, s25, v6
	s_delay_alu instid0(VALU_DEP_1)
	v_cmpx_ne_u64_e32 0, v[3:4]
	s_wait_alu 0xfffe
	s_xor_b32 s26, exec_lo, s2
	s_cbranch_execz .LBB0_4
; %bb.3:                                ;   in Loop: Header=BB0_2 Depth=1
	s_cvt_f32_u32 s2, s24
	s_cvt_f32_u32 s27, s25
	s_sub_nc_u64 s[30:31], 0, s[24:25]
	s_wait_alu 0xfffe
	s_delay_alu instid0(SALU_CYCLE_1) | instskip(SKIP_1) | instid1(SALU_CYCLE_2)
	s_fmamk_f32 s2, s27, 0x4f800000, s2
	s_wait_alu 0xfffe
	v_s_rcp_f32 s2, s2
	s_delay_alu instid0(TRANS32_DEP_1) | instskip(SKIP_1) | instid1(SALU_CYCLE_2)
	s_mul_f32 s2, s2, 0x5f7ffffc
	s_wait_alu 0xfffe
	s_mul_f32 s27, s2, 0x2f800000
	s_wait_alu 0xfffe
	s_delay_alu instid0(SALU_CYCLE_2) | instskip(SKIP_1) | instid1(SALU_CYCLE_2)
	s_trunc_f32 s27, s27
	s_wait_alu 0xfffe
	s_fmamk_f32 s2, s27, 0xcf800000, s2
	s_cvt_u32_f32 s29, s27
	s_wait_alu 0xfffe
	s_delay_alu instid0(SALU_CYCLE_1) | instskip(SKIP_1) | instid1(SALU_CYCLE_2)
	s_cvt_u32_f32 s28, s2
	s_wait_alu 0xfffe
	s_mul_u64 s[34:35], s[30:31], s[28:29]
	s_wait_alu 0xfffe
	s_mul_hi_u32 s37, s28, s35
	s_mul_i32 s36, s28, s35
	s_mul_hi_u32 s2, s28, s34
	s_mul_i32 s33, s29, s34
	s_wait_alu 0xfffe
	s_add_nc_u64 s[36:37], s[2:3], s[36:37]
	s_mul_hi_u32 s27, s29, s34
	s_mul_hi_u32 s38, s29, s35
	s_add_co_u32 s2, s36, s33
	s_wait_alu 0xfffe
	s_add_co_ci_u32 s2, s37, s27
	s_mul_i32 s34, s29, s35
	s_add_co_ci_u32 s35, s38, 0
	s_wait_alu 0xfffe
	s_add_nc_u64 s[34:35], s[2:3], s[34:35]
	s_wait_alu 0xfffe
	v_add_co_u32 v4, s2, s28, s34
	s_delay_alu instid0(VALU_DEP_1) | instskip(SKIP_1) | instid1(VALU_DEP_1)
	s_cmp_lg_u32 s2, 0
	s_add_co_ci_u32 s29, s29, s35
	v_readfirstlane_b32 s28, v4
	s_wait_alu 0xfffe
	s_delay_alu instid0(VALU_DEP_1)
	s_mul_u64 s[30:31], s[30:31], s[28:29]
	s_wait_alu 0xfffe
	s_mul_hi_u32 s35, s28, s31
	s_mul_i32 s34, s28, s31
	s_mul_hi_u32 s2, s28, s30
	s_mul_i32 s33, s29, s30
	s_wait_alu 0xfffe
	s_add_nc_u64 s[34:35], s[2:3], s[34:35]
	s_mul_hi_u32 s27, s29, s30
	s_mul_hi_u32 s28, s29, s31
	s_wait_alu 0xfffe
	s_add_co_u32 s2, s34, s33
	s_add_co_ci_u32 s2, s35, s27
	s_mul_i32 s30, s29, s31
	s_add_co_ci_u32 s31, s28, 0
	s_wait_alu 0xfffe
	s_add_nc_u64 s[30:31], s[2:3], s[30:31]
	s_wait_alu 0xfffe
	v_add_co_u32 v4, s2, v4, s30
	s_delay_alu instid0(VALU_DEP_1) | instskip(SKIP_1) | instid1(VALU_DEP_1)
	s_cmp_lg_u32 s2, 0
	s_add_co_ci_u32 s2, s29, s31
	v_mul_hi_u32 v13, v5, v4
	s_wait_alu 0xfffe
	v_mad_co_u64_u32 v[7:8], null, v5, s2, 0
	v_mad_co_u64_u32 v[9:10], null, v6, v4, 0
	;; [unrolled: 1-line block ×3, first 2 shown]
	s_delay_alu instid0(VALU_DEP_3) | instskip(SKIP_1) | instid1(VALU_DEP_4)
	v_add_co_u32 v4, vcc_lo, v13, v7
	s_wait_alu 0xfffd
	v_add_co_ci_u32_e32 v7, vcc_lo, 0, v8, vcc_lo
	s_delay_alu instid0(VALU_DEP_2) | instskip(SKIP_1) | instid1(VALU_DEP_2)
	v_add_co_u32 v4, vcc_lo, v4, v9
	s_wait_alu 0xfffd
	v_add_co_ci_u32_e32 v4, vcc_lo, v7, v10, vcc_lo
	s_wait_alu 0xfffd
	v_add_co_ci_u32_e32 v7, vcc_lo, 0, v12, vcc_lo
	s_delay_alu instid0(VALU_DEP_2) | instskip(SKIP_1) | instid1(VALU_DEP_2)
	v_add_co_u32 v4, vcc_lo, v4, v11
	s_wait_alu 0xfffd
	v_add_co_ci_u32_e32 v9, vcc_lo, 0, v7, vcc_lo
	s_delay_alu instid0(VALU_DEP_2) | instskip(SKIP_1) | instid1(VALU_DEP_3)
	v_mul_lo_u32 v10, s25, v4
	v_mad_co_u64_u32 v[7:8], null, s24, v4, 0
	v_mul_lo_u32 v11, s24, v9
	s_delay_alu instid0(VALU_DEP_2) | instskip(NEXT) | instid1(VALU_DEP_2)
	v_sub_co_u32 v7, vcc_lo, v5, v7
	v_add3_u32 v8, v8, v11, v10
	s_delay_alu instid0(VALU_DEP_1) | instskip(SKIP_1) | instid1(VALU_DEP_1)
	v_sub_nc_u32_e32 v10, v6, v8
	s_wait_alu 0xfffd
	v_subrev_co_ci_u32_e64 v10, s2, s25, v10, vcc_lo
	v_add_co_u32 v11, s2, v4, 2
	s_wait_alu 0xf1ff
	v_add_co_ci_u32_e64 v12, s2, 0, v9, s2
	v_sub_co_u32 v13, s2, v7, s24
	v_sub_co_ci_u32_e32 v8, vcc_lo, v6, v8, vcc_lo
	s_wait_alu 0xf1ff
	v_subrev_co_ci_u32_e64 v10, s2, 0, v10, s2
	s_delay_alu instid0(VALU_DEP_3) | instskip(NEXT) | instid1(VALU_DEP_3)
	v_cmp_le_u32_e32 vcc_lo, s24, v13
	v_cmp_eq_u32_e64 s2, s25, v8
	s_wait_alu 0xfffd
	v_cndmask_b32_e64 v13, 0, -1, vcc_lo
	v_cmp_le_u32_e32 vcc_lo, s25, v10
	s_wait_alu 0xfffd
	v_cndmask_b32_e64 v14, 0, -1, vcc_lo
	v_cmp_le_u32_e32 vcc_lo, s24, v7
	;; [unrolled: 3-line block ×3, first 2 shown]
	s_wait_alu 0xfffd
	v_cndmask_b32_e64 v15, 0, -1, vcc_lo
	v_cmp_eq_u32_e32 vcc_lo, s25, v10
	s_wait_alu 0xf1ff
	s_delay_alu instid0(VALU_DEP_2)
	v_cndmask_b32_e64 v7, v15, v7, s2
	s_wait_alu 0xfffd
	v_cndmask_b32_e32 v10, v14, v13, vcc_lo
	v_add_co_u32 v13, vcc_lo, v4, 1
	s_wait_alu 0xfffd
	v_add_co_ci_u32_e32 v14, vcc_lo, 0, v9, vcc_lo
	s_delay_alu instid0(VALU_DEP_3) | instskip(SKIP_1) | instid1(VALU_DEP_2)
	v_cmp_ne_u32_e32 vcc_lo, 0, v10
	s_wait_alu 0xfffd
	v_cndmask_b32_e32 v8, v14, v12, vcc_lo
	v_cndmask_b32_e32 v10, v13, v11, vcc_lo
	v_cmp_ne_u32_e32 vcc_lo, 0, v7
	s_wait_alu 0xfffd
	s_delay_alu instid0(VALU_DEP_2)
	v_dual_cndmask_b32 v65, v9, v8 :: v_dual_cndmask_b32 v64, v4, v10
.LBB0_4:                                ;   in Loop: Header=BB0_2 Depth=1
	s_wait_alu 0xfffe
	s_and_not1_saveexec_b32 s2, s26
	s_cbranch_execz .LBB0_6
; %bb.5:                                ;   in Loop: Header=BB0_2 Depth=1
	v_cvt_f32_u32_e32 v4, s24
	s_sub_co_i32 s26, 0, s24
	v_mov_b32_e32 v65, v3
	s_delay_alu instid0(VALU_DEP_2) | instskip(NEXT) | instid1(TRANS32_DEP_1)
	v_rcp_iflag_f32_e32 v4, v4
	v_mul_f32_e32 v4, 0x4f7ffffe, v4
	s_delay_alu instid0(VALU_DEP_1) | instskip(SKIP_1) | instid1(VALU_DEP_1)
	v_cvt_u32_f32_e32 v4, v4
	s_wait_alu 0xfffe
	v_mul_lo_u32 v7, s26, v4
	s_delay_alu instid0(VALU_DEP_1) | instskip(NEXT) | instid1(VALU_DEP_1)
	v_mul_hi_u32 v7, v4, v7
	v_add_nc_u32_e32 v4, v4, v7
	s_delay_alu instid0(VALU_DEP_1) | instskip(NEXT) | instid1(VALU_DEP_1)
	v_mul_hi_u32 v4, v5, v4
	v_mul_lo_u32 v7, v4, s24
	v_add_nc_u32_e32 v8, 1, v4
	s_delay_alu instid0(VALU_DEP_2) | instskip(NEXT) | instid1(VALU_DEP_1)
	v_sub_nc_u32_e32 v7, v5, v7
	v_subrev_nc_u32_e32 v9, s24, v7
	v_cmp_le_u32_e32 vcc_lo, s24, v7
	s_wait_alu 0xfffd
	s_delay_alu instid0(VALU_DEP_2) | instskip(NEXT) | instid1(VALU_DEP_1)
	v_dual_cndmask_b32 v7, v7, v9 :: v_dual_cndmask_b32 v4, v4, v8
	v_cmp_le_u32_e32 vcc_lo, s24, v7
	s_delay_alu instid0(VALU_DEP_2) | instskip(SKIP_1) | instid1(VALU_DEP_1)
	v_add_nc_u32_e32 v8, 1, v4
	s_wait_alu 0xfffd
	v_cndmask_b32_e32 v64, v4, v8, vcc_lo
.LBB0_6:                                ;   in Loop: Header=BB0_2 Depth=1
	s_wait_alu 0xfffe
	s_or_b32 exec_lo, exec_lo, s2
	v_mul_lo_u32 v4, v65, s24
	s_delay_alu instid0(VALU_DEP_2)
	v_mul_lo_u32 v9, v64, s25
	s_load_b64 s[26:27], s[18:19], 0x0
	v_mad_co_u64_u32 v[7:8], null, v64, s24, 0
	s_load_b64 s[24:25], s[16:17], 0x0
	s_add_nc_u64 s[20:21], s[20:21], 1
	s_add_nc_u64 s[16:17], s[16:17], 8
	s_wait_alu 0xfffe
	v_cmp_ge_u64_e64 s2, s[20:21], s[10:11]
	s_add_nc_u64 s[18:19], s[18:19], 8
	s_add_nc_u64 s[22:23], s[22:23], 8
	v_add3_u32 v4, v8, v9, v4
	v_sub_co_u32 v5, vcc_lo, v5, v7
	s_wait_alu 0xfffd
	s_delay_alu instid0(VALU_DEP_2) | instskip(SKIP_2) | instid1(VALU_DEP_1)
	v_sub_co_ci_u32_e32 v4, vcc_lo, v6, v4, vcc_lo
	s_and_b32 vcc_lo, exec_lo, s2
	s_wait_kmcnt 0x0
	v_mul_lo_u32 v6, s26, v4
	v_mul_lo_u32 v7, s27, v5
	v_mad_co_u64_u32 v[1:2], null, s26, v5, v[1:2]
	v_mul_lo_u32 v4, s24, v4
	v_mul_lo_u32 v8, s25, v5
	v_mad_co_u64_u32 v[60:61], null, s24, v5, v[60:61]
	s_delay_alu instid0(VALU_DEP_4) | instskip(NEXT) | instid1(VALU_DEP_2)
	v_add3_u32 v2, v7, v2, v6
	v_add3_u32 v61, v8, v61, v4
	s_wait_alu 0xfffe
	s_cbranch_vccnz .LBB0_9
; %bb.7:                                ;   in Loop: Header=BB0_2 Depth=1
	v_dual_mov_b32 v5, v64 :: v_dual_mov_b32 v6, v65
	s_branch .LBB0_2
.LBB0_8:
	v_dual_mov_b32 v61, v2 :: v_dual_mov_b32 v60, v1
	v_dual_mov_b32 v65, v6 :: v_dual_mov_b32 v64, v5
.LBB0_9:
	s_load_b64 s[0:1], s[0:1], 0x28
	v_mul_hi_u32 v3, 0x5d1745e, v0
	s_lshl_b64 s[10:11], s[10:11], 3
                                        ; implicit-def: $vgpr62
	s_wait_alu 0xfffe
	s_add_nc_u64 s[2:3], s[14:15], s[10:11]
	s_wait_kmcnt 0x0
	v_cmp_gt_u64_e32 vcc_lo, s[0:1], v[64:65]
	v_cmp_le_u64_e64 s0, s[0:1], v[64:65]
	s_delay_alu instid0(VALU_DEP_1)
	s_and_saveexec_b32 s1, s0
	s_wait_alu 0xfffe
	s_xor_b32 s0, exec_lo, s1
; %bb.10:
	v_mul_u32_u24_e32 v1, 44, v3
                                        ; implicit-def: $vgpr3
	s_delay_alu instid0(VALU_DEP_1)
	v_sub_nc_u32_e32 v62, v0, v1
                                        ; implicit-def: $vgpr0
                                        ; implicit-def: $vgpr1_vgpr2
; %bb.11:
	s_wait_alu 0xfffe
	s_or_saveexec_b32 s1, s0
	s_load_b64 s[2:3], s[2:3], 0x0
	s_xor_b32 exec_lo, exec_lo, s1
	s_cbranch_execz .LBB0_15
; %bb.12:
	s_add_nc_u64 s[10:11], s[12:13], s[10:11]
	v_lshlrev_b64_e32 v[1:2], 3, v[1:2]
	s_load_b64 s[10:11], s[10:11], 0x0
	s_wait_kmcnt 0x0
	v_mul_lo_u32 v6, s11, v64
	v_mul_lo_u32 v7, s10, v65
	v_mad_co_u64_u32 v[4:5], null, s10, v64, 0
	s_delay_alu instid0(VALU_DEP_1) | instskip(SKIP_1) | instid1(VALU_DEP_2)
	v_add3_u32 v5, v5, v7, v6
	v_mul_u32_u24_e32 v6, 44, v3
	v_lshlrev_b64_e32 v[3:4], 3, v[4:5]
	s_delay_alu instid0(VALU_DEP_2) | instskip(NEXT) | instid1(VALU_DEP_1)
	v_sub_nc_u32_e32 v62, v0, v6
	v_lshlrev_b32_e32 v44, 3, v62
	s_delay_alu instid0(VALU_DEP_3) | instskip(SKIP_1) | instid1(VALU_DEP_4)
	v_add_co_u32 v0, s0, s4, v3
	s_wait_alu 0xf1ff
	v_add_co_ci_u32_e64 v3, s0, s5, v4, s0
	s_mov_b32 s4, exec_lo
	s_delay_alu instid0(VALU_DEP_2) | instskip(SKIP_1) | instid1(VALU_DEP_2)
	v_add_co_u32 v0, s0, v0, v1
	s_wait_alu 0xf1ff
	v_add_co_ci_u32_e64 v1, s0, v3, v2, s0
	s_delay_alu instid0(VALU_DEP_2) | instskip(SKIP_1) | instid1(VALU_DEP_2)
	v_add_co_u32 v2, s0, v0, v44
	s_wait_alu 0xf1ff
	v_add_co_ci_u32_e64 v3, s0, 0, v1, s0
	s_clause 0x14
	global_load_b64 v[4:5], v[2:3], off
	global_load_b64 v[6:7], v[2:3], off offset:352
	global_load_b64 v[8:9], v[2:3], off offset:704
	;; [unrolled: 1-line block ×20, first 2 shown]
	v_add_nc_u32_e32 v44, 0, v44
	s_delay_alu instid0(VALU_DEP_1)
	v_add_nc_u32_e32 v45, 0x800, v44
	v_add_nc_u32_e32 v46, 0x1000, v44
	;; [unrolled: 1-line block ×3, first 2 shown]
	s_wait_loadcnt 0x13
	ds_store_2addr_b64 v44, v[4:5], v[6:7] offset1:44
	s_wait_loadcnt 0x11
	ds_store_2addr_b64 v44, v[8:9], v[10:11] offset0:88 offset1:132
	s_wait_loadcnt 0xf
	ds_store_2addr_b64 v44, v[12:13], v[14:15] offset0:176 offset1:220
	;; [unrolled: 2-line block ×9, first 2 shown]
	s_wait_loadcnt 0x0
	ds_store_b64 v44, v[2:3] offset:7040
	v_cmpx_eq_u32_e32 43, v62
	s_cbranch_execz .LBB0_14
; %bb.13:
	global_load_b64 v[0:1], v[0:1], off offset:7392
	v_mov_b32_e32 v2, 0
	v_mov_b32_e32 v62, 43
	s_wait_loadcnt 0x0
	ds_store_b64 v2, v[0:1] offset:7392
.LBB0_14:
	s_wait_alu 0xfffe
	s_or_b32 exec_lo, exec_lo, s4
.LBB0_15:
	s_delay_alu instid0(SALU_CYCLE_1)
	s_or_b32 exec_lo, exec_lo, s1
	v_lshlrev_b32_e32 v0, 3, v62
	global_wb scope:SCOPE_SE
	s_wait_dscnt 0x0
	s_wait_kmcnt 0x0
	s_barrier_signal -1
	s_barrier_wait -1
	global_inv scope:SCOPE_SE
	v_add_nc_u32_e32 v70, 0, v0
	v_sub_nc_u32_e32 v4, 0, v0
	s_mov_b32 s1, exec_lo
                                        ; implicit-def: $vgpr0_vgpr1
	ds_load_b32 v5, v70
	ds_load_b32 v6, v4 offset:7392
	s_wait_dscnt 0x0
	v_dual_sub_f32 v3, v5, v6 :: v_dual_add_f32 v2, v6, v5
	v_cmpx_ne_u32_e32 0, v62
	s_wait_alu 0xfffe
	s_xor_b32 s1, exec_lo, s1
	s_cbranch_execz .LBB0_17
; %bb.16:
	v_dual_mov_b32 v63, 0 :: v_dual_sub_f32 v8, v5, v6
	s_delay_alu instid0(VALU_DEP_1) | instskip(NEXT) | instid1(VALU_DEP_1)
	v_lshlrev_b64_e32 v[0:1], 3, v[62:63]
	v_add_co_u32 v0, s0, s8, v0
	s_wait_alu 0xf1ff
	s_delay_alu instid0(VALU_DEP_2)
	v_add_co_ci_u32_e64 v1, s0, s9, v1, s0
	global_load_b64 v[0:1], v[0:1], off offset:7376
	ds_load_b32 v2, v4 offset:7396
	ds_load_b32 v3, v70 offset:4
	v_add_f32_e32 v7, v6, v5
	s_wait_dscnt 0x0
	v_dual_add_f32 v9, v2, v3 :: v_dual_sub_f32 v2, v3, v2
	s_wait_loadcnt 0x0
	s_delay_alu instid0(VALU_DEP_1) | instskip(SKIP_2) | instid1(VALU_DEP_3)
	v_fma_f32 v6, v9, v1, -v2
	v_fma_f32 v5, -v8, v1, v7
	v_fma_f32 v10, v8, v1, v7
	v_fmac_f32_e32 v6, v8, v0
	v_fma_f32 v3, v9, v1, v2
	s_delay_alu instid0(VALU_DEP_4) | instskip(NEXT) | instid1(VALU_DEP_4)
	v_fmac_f32_e32 v5, v0, v9
	v_fma_f32 v2, -v0, v9, v10
	s_delay_alu instid0(VALU_DEP_3)
	v_dual_fmac_f32 v3, v8, v0 :: v_dual_mov_b32 v0, v62
	v_mov_b32_e32 v1, v63
	ds_store_b64 v4, v[5:6] offset:7392
.LBB0_17:
	s_wait_alu 0xfffe
	s_and_not1_saveexec_b32 s0, s1
	s_cbranch_execz .LBB0_19
; %bb.18:
	v_mov_b32_e32 v7, 0
	ds_load_b64 v[0:1], v7 offset:3696
	s_wait_dscnt 0x0
	v_dual_mul_f32 v6, -2.0, v1 :: v_dual_add_f32 v5, v0, v0
	v_mov_b32_e32 v0, 0
	v_mov_b32_e32 v1, 0
	ds_store_b64 v7, v[5:6] offset:3696
.LBB0_19:
	s_wait_alu 0xfffe
	s_or_b32 exec_lo, exec_lo, s0
	v_lshlrev_b64_e32 v[0:1], 3, v[0:1]
	s_add_nc_u64 s[0:1], s[8:9], 0x1cd0
	s_wait_alu 0xfffe
	s_delay_alu instid0(VALU_DEP_1) | instskip(SKIP_1) | instid1(VALU_DEP_2)
	v_add_co_u32 v0, s0, s0, v0
	s_wait_alu 0xf1ff
	v_add_co_ci_u32_e64 v1, s0, s1, v1, s0
	v_cmp_gt_u32_e64 s0, 22, v62
	s_clause 0x6
	global_load_b64 v[5:6], v[0:1], off offset:352
	global_load_b64 v[7:8], v[0:1], off offset:704
	;; [unrolled: 1-line block ×7, first 2 shown]
	ds_store_b64 v70, v[2:3]
	ds_load_b64 v[2:3], v70 offset:352
	ds_load_b64 v[19:20], v4 offset:7040
	global_load_b64 v[21:22], v[0:1], off offset:2816
	s_wait_dscnt 0x0
	v_add_f32_e32 v23, v2, v19
	v_sub_f32_e32 v25, v2, v19
	v_add_f32_e32 v24, v20, v3
	v_sub_f32_e32 v2, v3, v20
	s_wait_loadcnt 0x7
	s_delay_alu instid0(VALU_DEP_1) | instskip(SKIP_2) | instid1(VALU_DEP_3)
	v_fma_f32 v3, v24, v6, v2
	v_fma_f32 v26, v25, v6, v23
	v_fma_f32 v19, -v25, v6, v23
	v_fmac_f32_e32 v3, v25, v5
	v_fma_f32 v20, v24, v6, -v2
	s_delay_alu instid0(VALU_DEP_4) | instskip(NEXT) | instid1(VALU_DEP_4)
	v_fma_f32 v2, -v5, v24, v26
	v_fmac_f32_e32 v19, v5, v24
	s_delay_alu instid0(VALU_DEP_3)
	v_fmac_f32_e32 v20, v25, v5
	ds_store_b64 v70, v[2:3] offset:352
	ds_store_b64 v4, v[19:20] offset:7040
	ds_load_b64 v[2:3], v70 offset:704
	ds_load_b64 v[5:6], v4 offset:6688
	global_load_b64 v[19:20], v[0:1], off offset:3168
	s_wait_dscnt 0x0
	v_add_f32_e32 v24, v6, v3
	v_sub_f32_e32 v25, v2, v5
	v_dual_add_f32 v23, v2, v5 :: v_dual_sub_f32 v2, v3, v6
	s_wait_loadcnt 0x7
	s_delay_alu instid0(VALU_DEP_1) | instskip(SKIP_1) | instid1(VALU_DEP_2)
	v_fma_f32 v6, v24, v8, -v2
	v_fma_f32 v3, v24, v8, v2
	v_fmac_f32_e32 v6, v25, v7
	v_fma_f32 v26, v25, v8, v23
	v_fma_f32 v5, -v25, v8, v23
	s_delay_alu instid0(VALU_DEP_4) | instskip(NEXT) | instid1(VALU_DEP_3)
	v_fmac_f32_e32 v3, v25, v7
	v_fma_f32 v2, -v7, v24, v26
	s_delay_alu instid0(VALU_DEP_3)
	v_fmac_f32_e32 v5, v7, v24
	ds_store_b64 v70, v[2:3] offset:704
	ds_store_b64 v4, v[5:6] offset:6688
	ds_load_b64 v[2:3], v70 offset:1056
	ds_load_b64 v[5:6], v4 offset:6336
	s_wait_dscnt 0x0
	v_add_f32_e32 v7, v2, v5
	v_sub_f32_e32 v23, v2, v5
	v_add_f32_e32 v8, v6, v3
	v_sub_f32_e32 v2, v3, v6
	s_wait_loadcnt 0x6
	s_delay_alu instid0(VALU_DEP_3) | instskip(SKIP_1) | instid1(VALU_DEP_3)
	v_fma_f32 v24, v23, v10, v7
	v_fma_f32 v5, -v23, v10, v7
	v_fma_f32 v3, v8, v10, v2
	s_delay_alu instid0(VALU_DEP_1) | instskip(SKIP_2) | instid1(VALU_DEP_2)
	v_fmac_f32_e32 v3, v23, v9
	v_fma_f32 v6, v8, v10, -v2
	v_fma_f32 v2, -v9, v8, v24
	v_dual_fmac_f32 v5, v9, v8 :: v_dual_fmac_f32 v6, v23, v9
	ds_store_b64 v70, v[2:3] offset:1056
	ds_store_b64 v4, v[5:6] offset:6336
	ds_load_b64 v[2:3], v70 offset:1408
	ds_load_b64 v[5:6], v4 offset:5984
	s_wait_dscnt 0x0
	v_add_f32_e32 v8, v6, v3
	v_add_f32_e32 v7, v2, v5
	v_dual_sub_f32 v9, v2, v5 :: v_dual_sub_f32 v2, v3, v6
	s_wait_loadcnt 0x5
	s_delay_alu instid0(VALU_DEP_1) | instskip(NEXT) | instid1(VALU_DEP_2)
	v_fma_f32 v10, v9, v12, v7
	v_fma_f32 v3, v8, v12, v2
	v_fma_f32 v5, -v9, v12, v7
	v_fma_f32 v6, v8, v12, -v2
	s_delay_alu instid0(VALU_DEP_4) | instskip(NEXT) | instid1(VALU_DEP_4)
	v_fma_f32 v2, -v11, v8, v10
	v_fmac_f32_e32 v3, v9, v11
	s_delay_alu instid0(VALU_DEP_3)
	v_dual_fmac_f32 v5, v11, v8 :: v_dual_fmac_f32 v6, v9, v11
	ds_store_b64 v70, v[2:3] offset:1408
	ds_store_b64 v4, v[5:6] offset:5984
	ds_load_b64 v[2:3], v70 offset:1760
	ds_load_b64 v[5:6], v4 offset:5632
	s_wait_dscnt 0x0
	v_add_f32_e32 v8, v6, v3
	v_add_f32_e32 v7, v2, v5
	v_dual_sub_f32 v9, v2, v5 :: v_dual_sub_f32 v2, v3, v6
	s_wait_loadcnt 0x4
	s_delay_alu instid0(VALU_DEP_1) | instskip(NEXT) | instid1(VALU_DEP_2)
	v_fma_f32 v10, v9, v14, v7
	v_fma_f32 v3, v8, v14, v2
	v_fma_f32 v5, -v9, v14, v7
	v_fma_f32 v6, v8, v14, -v2
	s_delay_alu instid0(VALU_DEP_4) | instskip(NEXT) | instid1(VALU_DEP_4)
	v_fma_f32 v2, -v13, v8, v10
	v_fmac_f32_e32 v3, v9, v13
	s_delay_alu instid0(VALU_DEP_4) | instskip(NEXT) | instid1(VALU_DEP_4)
	v_fmac_f32_e32 v5, v13, v8
	v_fmac_f32_e32 v6, v9, v13
	ds_store_b64 v70, v[2:3] offset:1760
	ds_store_b64 v4, v[5:6] offset:5632
	ds_load_b64 v[2:3], v70 offset:2112
	ds_load_b64 v[5:6], v4 offset:5280
	s_wait_dscnt 0x0
	v_add_f32_e32 v7, v2, v5
	v_add_f32_e32 v8, v6, v3
	v_dual_sub_f32 v9, v2, v5 :: v_dual_sub_f32 v2, v3, v6
	s_wait_loadcnt 0x3
	s_delay_alu instid0(VALU_DEP_1) | instskip(NEXT) | instid1(VALU_DEP_2)
	v_fma_f32 v10, v9, v16, v7
	v_fma_f32 v3, v8, v16, v2
	v_fma_f32 v5, -v9, v16, v7
	v_fma_f32 v6, v8, v16, -v2
	s_delay_alu instid0(VALU_DEP_4) | instskip(NEXT) | instid1(VALU_DEP_4)
	v_fma_f32 v2, -v15, v8, v10
	v_fmac_f32_e32 v3, v9, v15
	s_delay_alu instid0(VALU_DEP_3)
	v_dual_fmac_f32 v5, v15, v8 :: v_dual_fmac_f32 v6, v9, v15
	ds_store_b64 v70, v[2:3] offset:2112
	ds_store_b64 v4, v[5:6] offset:5280
	ds_load_b64 v[2:3], v70 offset:2464
	ds_load_b64 v[5:6], v4 offset:4928
	s_wait_dscnt 0x0
	v_add_f32_e32 v7, v2, v5
	v_sub_f32_e32 v9, v2, v5
	v_add_f32_e32 v8, v6, v3
	v_sub_f32_e32 v2, v3, v6
	s_wait_loadcnt 0x2
	s_delay_alu instid0(VALU_DEP_3) | instskip(SKIP_1) | instid1(VALU_DEP_3)
	v_fma_f32 v10, v9, v18, v7
	v_fma_f32 v5, -v9, v18, v7
	v_fma_f32 v3, v8, v18, v2
	s_delay_alu instid0(VALU_DEP_1) | instskip(SKIP_3) | instid1(VALU_DEP_3)
	v_fmac_f32_e32 v3, v9, v17
	v_fma_f32 v6, v8, v18, -v2
	v_fma_f32 v2, -v17, v8, v10
	v_fmac_f32_e32 v5, v17, v8
	v_fmac_f32_e32 v6, v9, v17
	ds_store_b64 v70, v[2:3] offset:2464
	ds_store_b64 v4, v[5:6] offset:4928
	ds_load_b64 v[2:3], v70 offset:2816
	ds_load_b64 v[5:6], v4 offset:4576
	s_wait_dscnt 0x0
	v_add_f32_e32 v7, v2, v5
	v_add_f32_e32 v8, v6, v3
	v_dual_sub_f32 v9, v2, v5 :: v_dual_sub_f32 v2, v3, v6
	s_wait_loadcnt 0x1
	s_delay_alu instid0(VALU_DEP_1) | instskip(NEXT) | instid1(VALU_DEP_2)
	v_fma_f32 v10, v9, v22, v7
	v_fma_f32 v3, v8, v22, v2
	v_fma_f32 v5, -v9, v22, v7
	v_fma_f32 v6, v8, v22, -v2
	s_delay_alu instid0(VALU_DEP_4) | instskip(NEXT) | instid1(VALU_DEP_4)
	v_fma_f32 v2, -v21, v8, v10
	v_fmac_f32_e32 v3, v9, v21
	s_delay_alu instid0(VALU_DEP_4) | instskip(NEXT) | instid1(VALU_DEP_4)
	v_fmac_f32_e32 v5, v21, v8
	v_fmac_f32_e32 v6, v9, v21
	ds_store_b64 v70, v[2:3] offset:2816
	ds_store_b64 v4, v[5:6] offset:4576
	ds_load_b64 v[2:3], v70 offset:3168
	ds_load_b64 v[5:6], v4 offset:4224
	s_wait_dscnt 0x0
	v_add_f32_e32 v8, v6, v3
	v_add_f32_e32 v7, v2, v5
	v_dual_sub_f32 v9, v2, v5 :: v_dual_sub_f32 v2, v3, v6
	s_wait_loadcnt 0x0
	s_delay_alu instid0(VALU_DEP_1) | instskip(NEXT) | instid1(VALU_DEP_2)
	v_fma_f32 v10, v9, v20, v7
	v_fma_f32 v3, v8, v20, v2
	v_fma_f32 v5, -v9, v20, v7
	v_fma_f32 v6, v8, v20, -v2
	s_delay_alu instid0(VALU_DEP_4) | instskip(NEXT) | instid1(VALU_DEP_4)
	v_fma_f32 v2, -v19, v8, v10
	v_fmac_f32_e32 v3, v9, v19
	s_delay_alu instid0(VALU_DEP_3)
	v_dual_fmac_f32 v5, v19, v8 :: v_dual_fmac_f32 v6, v9, v19
	ds_store_b64 v70, v[2:3] offset:3168
	ds_store_b64 v4, v[5:6] offset:4224
	s_and_saveexec_b32 s1, s0
	s_cbranch_execz .LBB0_21
; %bb.20:
	global_load_b64 v[0:1], v[0:1], off offset:3520
	ds_load_b64 v[2:3], v70 offset:3520
	ds_load_b64 v[5:6], v4 offset:3872
	s_wait_dscnt 0x0
	v_dual_add_f32 v8, v6, v3 :: v_dual_sub_f32 v3, v3, v6
	v_sub_f32_e32 v9, v2, v5
	v_add_f32_e32 v7, v2, v5
	s_wait_loadcnt 0x0
	s_delay_alu instid0(VALU_DEP_3) | instskip(SKIP_1) | instid1(VALU_DEP_2)
	v_fma_f32 v2, v8, v1, v3
	v_fma_f32 v6, v8, v1, -v3
	v_fmac_f32_e32 v2, v9, v0
	v_fma_f32 v10, v9, v1, v7
	v_fma_f32 v5, -v9, v1, v7
	s_delay_alu instid0(VALU_DEP_4) | instskip(NEXT) | instid1(VALU_DEP_3)
	v_fmac_f32_e32 v6, v9, v0
	v_fma_f32 v1, -v0, v8, v10
	s_delay_alu instid0(VALU_DEP_3)
	v_fmac_f32_e32 v5, v0, v8
	ds_store_b64 v70, v[1:2] offset:3520
	ds_store_b64 v4, v[5:6] offset:3872
.LBB0_21:
	s_wait_alu 0xfffe
	s_or_b32 exec_lo, exec_lo, s1
	v_add_nc_u32_e32 v12, 0x800, v70
	global_wb scope:SCOPE_SE
	s_wait_dscnt 0x0
	s_barrier_signal -1
	s_barrier_wait -1
	global_inv scope:SCOPE_SE
	global_wb scope:SCOPE_SE
	s_barrier_signal -1
	s_barrier_wait -1
	global_inv scope:SCOPE_SE
	ds_load_2addr_b64 v[0:3], v70 offset1:44
	ds_load_2addr_b64 v[4:7], v12 offset0:184 offset1:206
	v_add_nc_u32_e32 v8, 0xc00, v70
	v_add_nc_u32_e32 v32, 0x1800, v70
	ds_load_2addr_b64 v[17:20], v70 offset0:88 offset1:132
	ds_load_2addr_b64 v[13:16], v8 offset0:122 offset1:166
	v_add_nc_u32_e32 v8, 0x1000, v70
	v_add_nc_u32_e32 v63, 44, v62
	;; [unrolled: 1-line block ×3, first 2 shown]
	ds_load_2addr_b64 v[21:24], v8 offset0:82 offset1:126
	s_wait_dscnt 0x3
	v_dual_sub_f32 v7, v1, v7 :: v_dual_add_nc_u32 v48, 0x84, v62
	ds_load_2addr_b64 v[25:28], v70 offset0:176 offset1:220
	ds_load_2addr_b64 v[33:36], v8 offset0:170 offset1:214
	;; [unrolled: 1-line block ×6, first 2 shown]
	v_add_nc_u32_e32 v47, 0xb0, v62
	v_sub_f32_e32 v6, v0, v6
	s_wait_dscnt 0x7
	v_sub_f32_e32 v10, v3, v14
	v_sub_f32_e32 v14, v18, v16
	;; [unrolled: 1-line block ×4, first 2 shown]
	v_add_nc_u32_e32 v45, 0x108, v62
	v_add_nc_u32_e32 v50, 0x134, v62
	s_wait_dscnt 0x6
	v_dual_sub_f32 v16, v20, v22 :: v_dual_sub_f32 v15, v19, v21
	v_fma_f32 v0, v0, 2.0, -v6
	v_fma_f32 v1, v1, 2.0, -v7
	v_add_nc_u32_e32 v46, 0xdc, v62
	v_fma_f32 v2, v2, 2.0, -v9
	v_fma_f32 v17, v17, 2.0, -v13
	s_wait_dscnt 0x5
	v_sub_f32_e32 v22, v26, v24
	s_wait_dscnt 0x3
	v_dual_sub_f32 v24, v28, v34 :: v_dual_sub_f32 v29, v37, v35
	s_wait_dscnt 0x2
	v_sub_f32_e32 v34, v40, v54
	s_wait_dscnt 0x0
	v_dual_sub_f32 v42, v4, v73 :: v_dual_sub_f32 v43, v5, v74
	v_dual_sub_f32 v30, v38, v36 :: v_dual_sub_f32 v21, v25, v23
	s_delay_alu instid0(VALU_DEP_3) | instskip(NEXT) | instid1(VALU_DEP_3)
	v_fma_f32 v54, v40, 2.0, -v34
	v_fma_f32 v40, v4, 2.0, -v42
	v_lshl_add_u32 v4, v62, 4, 0
	v_sub_f32_e32 v23, v27, v33
	v_sub_f32_e32 v57, v68, v71
	v_fma_f32 v3, v3, 2.0, -v10
	v_fma_f32 v41, v5, 2.0, -v43
	v_lshl_add_u32 v5, v63, 4, 0
	v_fma_f32 v18, v18, 2.0, -v14
	v_lshl_add_u32 v11, v44, 4, 0
	v_dual_sub_f32 v33, v39, v53 :: v_dual_add_nc_u32 v52, 0x18c, v62
	v_fma_f32 v19, v19, 2.0, -v15
	v_fma_f32 v20, v20, 2.0, -v16
	v_lshl_add_u32 v31, v48, 4, 0
	v_add_nc_u32_e32 v51, 0x160, v62
	v_fma_f32 v35, v37, 2.0, -v29
	v_sub_f32_e32 v37, v66, v55
	v_fma_f32 v36, v38, 2.0, -v30
	v_dual_sub_f32 v38, v67, v56 :: v_dual_add_nc_u32 v49, 0x1b8, v62
	v_sub_f32_e32 v58, v69, v72
	v_fma_f32 v25, v25, 2.0, -v21
	v_fma_f32 v26, v26, 2.0, -v22
	global_wb scope:SCOPE_SE
	s_barrier_signal -1
	s_barrier_wait -1
	global_inv scope:SCOPE_SE
	ds_store_2addr_b64 v4, v[0:1], v[6:7] offset1:1
	ds_store_2addr_b64 v5, v[2:3], v[9:10] offset1:1
	;; [unrolled: 1-line block ×4, first 2 shown]
	v_lshl_add_u32 v0, v47, 4, 0
	v_fma_f32 v27, v27, 2.0, -v23
	v_fma_f32 v28, v28, 2.0, -v24
	v_lshl_add_u32 v1, v46, 4, 0
	v_lshl_add_u32 v2, v45, 4, 0
	v_fma_f32 v53, v39, 2.0, -v33
	v_lshl_add_u32 v3, v50, 4, 0
	v_fma_f32 v55, v66, 2.0, -v37
	v_fma_f32 v56, v67, 2.0, -v38
	v_lshl_add_u32 v4, v51, 4, 0
	v_fma_f32 v66, v68, 2.0, -v57
	v_fma_f32 v67, v69, 2.0, -v58
	v_lshl_add_u32 v5, v52, 4, 0
	ds_store_2addr_b64 v0, v[25:26], v[21:22] offset1:1
	ds_store_2addr_b64 v1, v[27:28], v[23:24] offset1:1
	;; [unrolled: 1-line block ×6, first 2 shown]
	s_and_saveexec_b32 s1, s0
	s_cbranch_execz .LBB0_23
; %bb.22:
	v_lshl_add_u32 v0, v49, 4, 0
	ds_store_2addr_b64 v0, v[40:41], v[42:43] offset1:1
.LBB0_23:
	s_wait_alu 0xfffe
	s_or_b32 exec_lo, exec_lo, s1
	v_add_nc_u32_e32 v13, 0x1400, v70
	global_wb scope:SCOPE_SE
	s_wait_dscnt 0x0
	s_barrier_signal -1
	s_barrier_wait -1
	global_inv scope:SCOPE_SE
	ds_load_2addr_b64 v[0:3], v70 offset1:44
	ds_load_2addr_b64 v[20:23], v12 offset0:206 offset1:250
	ds_load_2addr_b64 v[4:7], v70 offset0:88 offset1:132
	;; [unrolled: 1-line block ×9, first 2 shown]
	v_lshlrev_b32_e32 v67, 1, v62
	v_lshlrev_b32_e32 v66, 1, v63
	;; [unrolled: 1-line block ×10, first 2 shown]
	s_and_saveexec_b32 s1, s0
	s_cbranch_execz .LBB0_25
; %bb.24:
	ds_load_b64 v[40:41], v70 offset:3520
	ds_load_b64 v[42:43], v70 offset:7216
.LBB0_25:
	s_wait_alu 0xfffe
	s_or_b32 exec_lo, exec_lo, s1
	v_and_b32_e32 v50, 1, v62
	s_delay_alu instid0(VALU_DEP_1)
	v_lshlrev_b32_e32 v52, 3, v50
	global_load_b64 v[68:69], v52, s[8:9]
	v_and_or_b32 v52, 0x7c, v67, v50
	global_wb scope:SCOPE_SE
	s_wait_loadcnt_dscnt 0x0
	s_barrier_signal -1
	s_barrier_wait -1
	global_inv scope:SCOPE_SE
	v_lshl_add_u32 v52, v52, 3, 0
	v_mul_f32_e32 v75, v69, v36
	v_mul_f32_e32 v67, v69, v20
	v_and_or_b32 v66, 0xfc, v66, v50
	v_dual_mul_f32 v73, v69, v22 :: v_dual_mul_f32 v90, v43, v69
	v_mul_f32_e32 v72, v69, v23
	s_delay_alu instid0(VALU_DEP_4) | instskip(NEXT) | instid1(VALU_DEP_4)
	v_dual_mul_f32 v76, v69, v39 :: v_dual_fmac_f32 v67, v68, v21
	v_lshl_add_u32 v71, v66, 3, 0
	s_delay_alu instid0(VALU_DEP_4) | instskip(SKIP_2) | instid1(VALU_DEP_3)
	v_dual_mul_f32 v66, v69, v21 :: v_dual_fmac_f32 v73, v68, v23
	v_dual_mul_f32 v80, v69, v31 :: v_dual_fmac_f32 v75, v68, v37
	v_mul_f32_e32 v85, v69, v26
	v_fma_f32 v20, v68, v20, -v66
	v_mul_f32_e32 v77, v69, v38
	v_mul_f32_e32 v82, v69, v25
	;; [unrolled: 1-line block ×4, first 2 shown]
	v_sub_f32_e32 v20, v0, v20
	v_dual_mul_f32 v74, v69, v37 :: v_dual_fmac_f32 v77, v68, v39
	v_mul_f32_e32 v89, v69, v34
	v_mul_f32_e32 v86, v69, v33
	v_fma_f32 v37, v68, v38, -v76
	s_delay_alu instid0(VALU_DEP_4)
	v_fma_f32 v36, v68, v36, -v74
	v_mul_f32_e32 v81, v69, v30
	v_mul_f32_e32 v83, v69, v24
	v_mul_f32_e32 v88, v69, v35
	v_fma_f32 v30, v68, v30, -v80
	v_mul_f32_e32 v87, v69, v32
	v_fmac_f32_e32 v85, v68, v27
	v_fma_f32 v38, v68, v24, -v82
	v_sub_f32_e32 v24, v4, v36
	v_sub_f32_e32 v30, v18, v30
	v_dual_mul_f32 v78, v69, v29 :: v_dual_fmac_f32 v81, v68, v31
	v_mul_f32_e32 v69, v42, v69
	v_fma_f32 v22, v68, v22, -v72
	v_fma_f32 v42, v42, v68, -v90
	s_delay_alu instid0(VALU_DEP_4) | instskip(SKIP_1) | instid1(VALU_DEP_4)
	v_fma_f32 v28, v68, v28, -v78
	v_sub_f32_e32 v23, v3, v73
	v_dual_fmac_f32 v69, v43, v68 :: v_dual_sub_f32 v22, v2, v22
	v_fmac_f32_e32 v79, v68, v29
	v_fma_f32 v39, v68, v26, -v84
	v_sub_f32_e32 v26, v6, v37
	v_fmac_f32_e32 v83, v68, v25
	v_fma_f32 v72, v68, v34, -v88
	s_delay_alu instid0(VALU_DEP_4)
	v_dual_fmac_f32 v87, v68, v33 :: v_dual_sub_f32 v34, v10, v39
	v_fmac_f32_e32 v89, v68, v35
	v_fma_f32 v66, v68, v32, -v86
	v_sub_f32_e32 v21, v1, v67
	v_and_or_b32 v59, 0x1fc, v59, v50
	v_sub_f32_e32 v25, v5, v75
	v_and_or_b32 v58, 0x1fc, v58, v50
	v_dual_sub_f32 v36, v12, v66 :: v_dual_sub_f32 v27, v7, v77
	v_and_or_b32 v57, 0x1fc, v57, v50
	v_dual_sub_f32 v28, v16, v28 :: v_dual_sub_f32 v29, v17, v79
	v_and_or_b32 v56, 0x3fc, v56, v50
	v_and_or_b32 v55, 0x2fc, v55, v50
	;; [unrolled: 1-line block ×5, first 2 shown]
	v_dual_sub_f32 v31, v19, v81 :: v_dual_sub_f32 v32, v8, v38
	v_sub_f32_e32 v33, v9, v83
	v_dual_sub_f32 v35, v11, v85 :: v_dual_sub_f32 v38, v14, v72
	v_sub_f32_e32 v37, v13, v87
	;; [unrolled: 2-line block ×3, first 2 shown]
	v_fma_f32 v0, v0, 2.0, -v20
	v_fma_f32 v1, v1, 2.0, -v21
	;; [unrolled: 1-line block ×4, first 2 shown]
	v_lshl_add_u32 v59, v59, 3, 0
	v_fma_f32 v4, v4, 2.0, -v24
	v_fma_f32 v5, v5, 2.0, -v25
	v_lshl_add_u32 v58, v58, 3, 0
	v_fma_f32 v6, v6, 2.0, -v26
	v_fma_f32 v7, v7, 2.0, -v27
	;; [unrolled: 3-line block ×3, first 2 shown]
	v_lshl_add_u32 v56, v56, 3, 0
	v_lshl_add_u32 v55, v55, 3, 0
	;; [unrolled: 1-line block ×5, first 2 shown]
	v_fma_f32 v18, v18, 2.0, -v30
	v_fma_f32 v19, v19, 2.0, -v31
	;; [unrolled: 1-line block ×10, first 2 shown]
	ds_store_2addr_b64 v52, v[0:1], v[20:21] offset1:2
	ds_store_2addr_b64 v71, v[2:3], v[22:23] offset1:2
	;; [unrolled: 1-line block ×10, first 2 shown]
	s_and_saveexec_b32 s1, s0
	s_cbranch_execz .LBB0_27
; %bb.26:
	v_lshlrev_b32_e32 v0, 1, v49
	v_fma_f32 v1, v41, 2.0, -v67
	s_delay_alu instid0(VALU_DEP_2) | instskip(SKIP_1) | instid1(VALU_DEP_2)
	v_and_or_b32 v2, 0x3fc, v0, v50
	v_fma_f32 v0, v40, 2.0, -v66
	v_lshl_add_u32 v2, v2, 3, 0
	ds_store_2addr_b64 v2, v[0:1], v[66:67] offset1:2
.LBB0_27:
	s_wait_alu 0xfffe
	s_or_b32 exec_lo, exec_lo, s1
	v_and_b32_e32 v18, 3, v62
	global_wb scope:SCOPE_SE
	s_wait_dscnt 0x0
	s_barrier_signal -1
	s_barrier_wait -1
	global_inv scope:SCOPE_SE
	v_lshlrev_b32_e32 v0, 4, v18
	ds_load_2addr_b64 v[8:11], v70 offset1:44
	v_lshrrev_b32_e32 v23, 2, v48
	v_lshrrev_b32_e32 v24, 2, v47
	;; [unrolled: 1-line block ×3, first 2 shown]
	global_load_b128 v[12:15], v0, s[8:9] offset:16
	v_add_nc_u32_e32 v72, 0x800, v70
	v_add_nc_u32_e32 v71, 0x1000, v70
	ds_load_2addr_b64 v[4:7], v70 offset0:88 offset1:132
	ds_load_2addr_b64 v[0:3], v70 offset0:176 offset1:220
	v_add_nc_u32_e32 v20, 0x1800, v70
	ds_load_b64 v[16:17], v70 offset:7040
	v_lshrrev_b32_e32 v42, 2, v45
	ds_load_2addr_b64 v[26:29], v72 offset0:8 offset1:52
	ds_load_2addr_b64 v[30:33], v71 offset0:104 offset1:148
	;; [unrolled: 1-line block ×7, first 2 shown]
	v_lshrrev_b32_e32 v19, 2, v62
	v_lshrrev_b32_e32 v22, 2, v44
	v_and_b32_e32 v43, 0xff, v62
	v_and_b32_e32 v57, 0xff, v63
	v_mul_u32_u24_e32 v59, 12, v25
	v_mul_u32_u24_e32 v19, 12, v19
	;; [unrolled: 1-line block ×3, first 2 shown]
	v_mul_lo_u16 v43, 0xab, v43
	v_mul_u32_u24_e32 v24, 12, v24
	v_lshrrev_b32_e32 v21, 2, v63
	v_or_b32_e32 v19, v19, v18
	v_mul_u32_u24_e32 v23, 12, v23
	v_lshrrev_b16 v25, 11, v43
	v_or_b32_e32 v43, v22, v18
	v_or_b32_e32 v24, v24, v18
	v_and_b32_e32 v58, 0xff, v44
	v_mul_u32_u24_e32 v21, 12, v21
	v_mul_u32_u24_e32 v42, 12, v42
	v_lshl_add_u32 v69, v43, 3, 0
	v_lshl_add_u32 v73, v24, 3, 0
	global_wb scope:SCOPE_SE
	s_wait_loadcnt_dscnt 0x0
	s_barrier_signal -1
	s_barrier_wait -1
	global_inv scope:SCOPE_SE
	v_cmp_gt_u32_e64 s0, 40, v62
	v_mul_f32_e32 v43, v15, v30
	v_mul_f32_e32 v78, v13, v34
	v_mul_lo_u16 v57, 0xab, v57
	v_mul_lo_u16 v58, 0xab, v58
	v_mul_f32_e32 v77, v13, v35
	v_mul_f32_e32 v79, v15, v33
	;; [unrolled: 1-line block ×3, first 2 shown]
	v_lshrrev_b16 v22, 11, v57
	v_lshl_add_u32 v57, v19, 3, 0
	v_dual_mul_f32 v82, v36, v13 :: v_dual_mul_f32 v87, v41, v15
	v_dual_mul_f32 v84, v38, v15 :: v_dual_mul_f32 v89, v48, v13
	s_delay_alu instid0(VALU_DEP_4) | instskip(SKIP_2) | instid1(VALU_DEP_3)
	v_mul_lo_u16 v19, v22, 12
	v_dual_mul_f32 v86, v45, v13 :: v_dual_mul_f32 v91, v50, v15
	v_dual_mul_f32 v90, v47, v13 :: v_dual_mul_f32 v95, v52, v15
	v_sub_nc_u16 v19, v63, v19
	v_dual_mul_f32 v92, v49, v15 :: v_dual_mul_f32 v97, v56, v13
	v_mul_f32_e32 v85, v46, v13
	v_dual_mul_f32 v94, v53, v13 :: v_dual_mul_f32 v99, v16, v15
	s_delay_alu instid0(VALU_DEP_4)
	v_dual_mul_f32 v19, v13, v28 :: v_dual_and_b32 v24, 0xff, v19
	v_or_b32_e32 v68, v23, v18
	v_mul_lo_u16 v23, v25, 12
	v_or_b32_e32 v21, v21, v18
	v_or_b32_e32 v59, v59, v18
	;; [unrolled: 1-line block ×3, first 2 shown]
	v_mul_f32_e32 v80, v15, v32
	v_sub_nc_u16 v42, v62, v23
	v_lshrrev_b16 v23, 11, v58
	v_lshl_add_u32 v58, v21, 3, 0
	v_lshl_add_u32 v74, v18, 3, 0
	s_delay_alu instid0(VALU_DEP_4) | instskip(SKIP_3) | instid1(VALU_DEP_4)
	v_dual_mul_f32 v18, v13, v29 :: v_dual_and_b32 v21, 0xff, v42
	v_dual_mul_f32 v88, v40, v15 :: v_dual_mul_f32 v93, v54, v13
	v_mul_f32_e32 v83, v39, v15
	v_dual_mul_f32 v96, v51, v15 :: v_dual_fmac_f32 v19, v12, v29
	v_mul_u32_u24_e32 v42, 6, v21
	v_dual_mul_f32 v13, v55, v13 :: v_dual_mul_f32 v98, v17, v15
	v_dual_fmac_f32 v43, v14, v31 :: v_dual_fmac_f32 v82, v37, v12
	s_delay_alu instid0(VALU_DEP_3) | instskip(SKIP_4) | instid1(VALU_DEP_4)
	v_lshlrev_b32_e32 v76, 3, v42
	v_mul_f32_e32 v42, v15, v31
	v_fma_f32 v18, v12, v28, -v18
	v_dual_fmac_f32 v80, v14, v33 :: v_dual_fmac_f32 v13, v56, v12
	v_fma_f32 v28, v12, v34, -v77
	v_fma_f32 v15, v14, v30, -v42
	;; [unrolled: 1-line block ×3, first 2 shown]
	v_dual_fmac_f32 v78, v12, v35 :: v_dual_fmac_f32 v99, v17, v14
	v_fma_f32 v29, v36, v12, -v81
	v_fma_f32 v31, v38, v14, -v83
	v_fmac_f32_e32 v84, v39, v14
	v_fma_f32 v32, v45, v12, -v85
	v_dual_fmac_f32 v86, v46, v12 :: v_dual_add_f32 v17, v19, v43
	v_fma_f32 v33, v40, v14, -v87
	v_dual_fmac_f32 v90, v48, v12 :: v_dual_add_f32 v45, v11, v78
	v_fmac_f32_e32 v92, v50, v14
	v_fmac_f32_e32 v88, v41, v14
	v_fma_f32 v34, v47, v12, -v89
	v_fma_f32 v35, v49, v14, -v91
	;; [unrolled: 1-line block ×3, first 2 shown]
	v_fmac_f32_e32 v94, v54, v12
	v_fma_f32 v37, v51, v14, -v95
	v_fma_f32 v38, v55, v12, -v97
	;; [unrolled: 1-line block ×3, first 2 shown]
	v_dual_sub_f32 v41, v18, v15 :: v_dual_fmac_f32 v96, v52, v14
	v_add_f32_e32 v51, v82, v84
	v_dual_add_f32 v14, v18, v15 :: v_dual_sub_f32 v47, v28, v30
	v_dual_sub_f32 v40, v19, v43 :: v_dual_sub_f32 v77, v32, v33
	v_dual_add_f32 v16, v9, v19 :: v_dual_add_f32 v55, v7, v86
	v_dual_add_f32 v19, v28, v30 :: v_dual_add_f32 v46, v78, v80
	v_dual_add_f32 v87, v3, v94 :: v_dual_add_f32 v48, v29, v31
	v_add_f32_e32 v89, v94, v96
	v_dual_sub_f32 v49, v82, v84 :: v_dual_add_f32 v50, v5, v82
	v_sub_f32_e32 v83, v34, v35
	v_dual_add_f32 v53, v32, v33 :: v_dual_add_f32 v82, v90, v92
	v_add_f32_e32 v12, v8, v18
	v_dual_add_f32 v18, v10, v28 :: v_dual_add_f32 v81, v1, v90
	v_dual_sub_f32 v42, v78, v80 :: v_dual_add_f32 v85, v36, v37
	v_dual_add_f32 v28, v4, v29 :: v_dual_sub_f32 v79, v90, v92
	v_dual_sub_f32 v52, v29, v31 :: v_dual_fmac_f32 v11, -0.5, v46
	v_add_f32_e32 v29, v6, v32
	v_dual_add_f32 v56, v86, v88 :: v_dual_add_f32 v95, v13, v99
	v_dual_add_f32 v32, v0, v34 :: v_dual_add_f32 v91, v38, v39
	v_add_f32_e32 v78, v34, v35
	v_dual_add_f32 v34, v2, v36 :: v_dual_fmac_f32 v3, -0.5, v89
	v_fma_f32 v8, -0.5, v14, v8
	v_fma_f32 v9, -0.5, v17, v9
	v_dual_sub_f32 v90, v36, v37 :: v_dual_sub_f32 v97, v38, v39
	v_add_f32_e32 v36, v26, v38
	v_fma_f32 v10, -0.5, v19, v10
	v_add_f32_e32 v19, v55, v88
	v_dual_sub_f32 v54, v86, v88 :: v_dual_sub_f32 v93, v13, v99
	v_sub_f32_e32 v86, v94, v96
	v_dual_add_f32 v94, v27, v13 :: v_dual_add_f32 v17, v50, v84
	v_add_f32_e32 v13, v16, v43
	v_fma_f32 v4, -0.5, v48, v4
	v_fma_f32 v5, -0.5, v51, v5
	;; [unrolled: 1-line block ×4, first 2 shown]
	v_mul_lo_u16 v75, v23, 12
	v_dual_add_f32 v12, v12, v15 :: v_dual_fmac_f32 v7, -0.5, v56
	v_dual_add_f32 v14, v18, v30 :: v_dual_add_f32 v15, v45, v80
	v_dual_add_f32 v16, v28, v31 :: v_dual_add_f32 v31, v87, v96
	v_dual_add_f32 v28, v32, v35 :: v_dual_fmamk_f32 v35, v41, 0xbf5db3d7, v9
	v_fma_f32 v0, -0.5, v78, v0
	v_dual_add_f32 v30, v34, v37 :: v_dual_fmamk_f32 v37, v47, 0xbf5db3d7, v11
	v_fma_f32 v2, -0.5, v85, v2
	v_fma_f32 v26, -0.5, v91, v26
	v_dual_fmac_f32 v27, -0.5, v95 :: v_dual_fmamk_f32 v34, v40, 0x3f5db3d7, v8
	v_fmac_f32_e32 v11, 0x3f5db3d7, v47
	v_dual_add_f32 v32, v36, v39 :: v_dual_fmac_f32 v9, 0x3f5db3d7, v41
	v_dual_fmac_f32 v8, 0xbf5db3d7, v40 :: v_dual_fmamk_f32 v39, v52, 0xbf5db3d7, v5
	v_dual_fmamk_f32 v36, v42, 0x3f5db3d7, v10 :: v_dual_fmac_f32 v5, 0x3f5db3d7, v52
	v_dual_fmac_f32 v10, 0xbf5db3d7, v42 :: v_dual_fmamk_f32 v41, v77, 0xbf5db3d7, v7
	v_dual_fmamk_f32 v38, v49, 0x3f5db3d7, v4 :: v_dual_fmac_f32 v7, 0x3f5db3d7, v77
	;; [unrolled: 2-line block ×3, first 2 shown]
	v_lshl_add_u32 v68, v68, 3, 0
	v_lshl_add_u32 v59, v59, 3, 0
	v_dual_add_f32 v18, v29, v33 :: v_dual_add_f32 v33, v94, v99
	v_dual_add_f32 v29, v81, v92 :: v_dual_fmac_f32 v6, 0xbf5db3d7, v54
	v_fmamk_f32 v42, v79, 0x3f5db3d7, v0
	v_dual_fmac_f32 v0, 0xbf5db3d7, v79 :: v_dual_lshlrev_b32 v55, 3, v24
	v_fmamk_f32 v45, v86, 0x3f5db3d7, v2
	v_fmac_f32_e32 v2, 0xbf5db3d7, v86
	v_fmamk_f32 v46, v90, 0xbf5db3d7, v3
	v_fmac_f32_e32 v3, 0x3f5db3d7, v90
	v_dual_fmamk_f32 v47, v93, 0x3f5db3d7, v26 :: v_dual_lshlrev_b32 v50, 3, v21
	v_fmac_f32_e32 v26, 0xbf5db3d7, v93
	v_fmamk_f32 v48, v97, 0xbf5db3d7, v27
	v_fmac_f32_e32 v27, 0x3f5db3d7, v97
	ds_store_2addr_b64 v57, v[12:13], v[34:35] offset1:4
	ds_store_b64 v57, v[8:9] offset:64
	ds_store_2addr_b64 v58, v[14:15], v[36:37] offset1:4
	ds_store_b64 v58, v[10:11] offset:64
	;; [unrolled: 2-line block ×7, first 2 shown]
	v_sub_nc_u16 v1, v44, v75
	v_mul_u32_u24_e32 v0, 6, v24
	global_wb scope:SCOPE_SE
	s_wait_dscnt 0x0
	s_barrier_signal -1
	s_barrier_wait -1
	global_inv scope:SCOPE_SE
	s_clause 0x1
	global_load_b128 v[26:29], v76, s[8:9] offset:80
	global_load_b128 v[30:33], v76, s[8:9] offset:96
	v_and_b32_e32 v46, 0xff, v1
	v_lshlrev_b32_e32 v0, 3, v0
	global_load_b128 v[34:37], v76, s[8:9] offset:112
	v_and_b32_e32 v22, 0xffff, v22
	v_mul_u32_u24_e32 v1, 6, v46
	s_clause 0x1
	global_load_b128 v[38:41], v0, s[8:9] offset:80
	global_load_b128 v[16:19], v0, s[8:9] offset:96
	v_and_b32_e32 v25, 0xffff, v25
	v_mul_u32_u24_e32 v54, 0x2a0, v22
	v_lshlrev_b32_e32 v1, 3, v1
	s_clause 0x3
	global_load_b128 v[12:15], v0, s[8:9] offset:112
	global_load_b128 v[8:11], v1, s[8:9] offset:80
	;; [unrolled: 1-line block ×4, first 2 shown]
	ds_load_2addr_b64 v[42:45], v70 offset0:88 offset1:132
	v_and_b32_e32 v23, 0xffff, v23
	v_mul_u32_u24_e32 v25, 0x2a0, v25
	v_lshlrev_b32_e32 v59, 3, v46
	ds_load_2addr_b64 v[46:49], v72 offset0:96 offset1:140
	v_add3_u32 v69, 0, v54, v55
	v_mul_u32_u24_e32 v58, 0x2a0, v23
	ds_load_2addr_b64 v[21:24], v72 offset0:8 offset1:52
	v_add3_u32 v68, 0, v25, v50
	ds_load_2addr_b64 v[50:53], v71 offset0:16 offset1:60
	ds_load_2addr_b64 v[54:57], v71 offset0:104 offset1:148
	v_add3_u32 v94, 0, v58, v59
	ds_load_2addr_b64 v[74:77], v20 offset0:24 offset1:68
	ds_load_2addr_b64 v[78:81], v70 offset1:44
	ds_load_2addr_b64 v[82:85], v70 offset0:176 offset1:220
	ds_load_2addr_b64 v[86:89], v72 offset0:184 offset1:228
	;; [unrolled: 1-line block ×3, first 2 shown]
	ds_load_b64 v[58:59], v70 offset:7040
	v_add_nc_u32_e32 v73, 0xc00, v70
	global_wb scope:SCOPE_SE
	s_wait_loadcnt_dscnt 0x0
	s_barrier_signal -1
	s_barrier_wait -1
	global_inv scope:SCOPE_SE
	v_mul_f32_e32 v20, v27, v45
	v_mul_f32_e32 v25, v27, v44
	;; [unrolled: 1-line block ×5, first 2 shown]
	v_dual_mul_f32 v37, v74, v37 :: v_dual_mul_f32 v96, v33, v51
	v_mul_f32_e32 v33, v33, v50
	v_fma_f32 v20, v26, v44, -v20
	v_dual_mul_f32 v102, v53, v19 :: v_dual_fmac_f32 v25, v26, v45
	v_fma_f32 v21, v28, v21, -v27
	v_fmac_f32_e32 v29, v28, v22
	v_fma_f32 v28, v74, v36, -v98
	v_mul_f32_e32 v97, v57, v35
	v_fmac_f32_e32 v37, v75, v36
	v_mul_f32_e32 v35, v56, v35
	v_mul_f32_e32 v95, v31, v49
	v_dual_mul_f32 v99, v24, v41 :: v_dual_mul_f32 v104, v77, v15
	v_mul_f32_e32 v106, v47, v11
	v_fma_f32 v26, v32, v50, -v96
	v_dual_fmac_f32 v33, v32, v51 :: v_dual_add_f32 v32, v25, v37
	v_fmac_f32_e32 v35, v57, v34
	v_mul_f32_e32 v103, v91, v13
	v_dual_mul_f32 v13, v90, v13 :: v_dual_mul_f32 v110, v59, v3
	v_mul_f32_e32 v31, v31, v48
	v_mul_f32_e32 v41, v23, v41
	;; [unrolled: 1-line block ×3, first 2 shown]
	v_dual_mul_f32 v17, v86, v17 :: v_dual_mul_f32 v108, v55, v7
	v_fma_f32 v22, v30, v48, -v95
	v_mul_f32_e32 v19, v52, v19
	v_fma_f32 v23, v23, v40, -v99
	v_mul_f32_e32 v15, v76, v15
	v_fmac_f32_e32 v13, v91, v12
	v_mul_f32_e32 v11, v46, v11
	v_fmac_f32_e32 v31, v30, v49
	v_fma_f32 v30, v52, v18, -v102
	v_fmac_f32_e32 v19, v53, v18
	v_fma_f32 v18, v86, v16, -v101
	;; [unrolled: 2-line block ×4, first 2 shown]
	v_mul_f32_e32 v105, v85, v9
	v_mul_f32_e32 v9, v84, v9
	v_fmac_f32_e32 v11, v47, v10
	v_mul_f32_e32 v3, v58, v3
	v_mul_f32_e32 v107, v89, v5
	v_fma_f32 v12, v84, v8, -v105
	v_fmac_f32_e32 v9, v85, v8
	v_mul_f32_e32 v7, v54, v7
	v_fmac_f32_e32 v3, v59, v2
	v_mul_f32_e32 v5, v88, v5
	v_fma_f32 v8, v46, v10, -v106
	v_mul_f32_e32 v109, v93, v1
	v_fma_f32 v10, v88, v4, -v107
	s_delay_alu instid0(VALU_DEP_4) | instskip(SKIP_4) | instid1(VALU_DEP_3)
	v_dual_mul_f32 v100, v83, v39 :: v_dual_fmac_f32 v5, v89, v4
	v_fma_f32 v4, v54, v6, -v108
	v_mul_f32_e32 v1, v92, v1
	v_fmac_f32_e32 v7, v55, v6
	v_fma_f32 v6, v92, v0, -v109
	v_fmac_f32_e32 v1, v93, v0
	v_fma_f32 v0, v58, v2, -v110
	v_add_f32_e32 v2, v20, v28
	v_fma_f32 v27, v56, v34, -v97
	v_sub_f32_e32 v20, v20, v28
	v_add_f32_e32 v34, v29, v35
	s_delay_alu instid0(VALU_DEP_3)
	v_add_f32_e32 v28, v21, v27
	v_sub_f32_e32 v21, v21, v27
	v_sub_f32_e32 v27, v29, v35
	v_add_f32_e32 v35, v31, v33
	v_fmac_f32_e32 v41, v24, v40
	v_fma_f32 v24, v82, v38, -v100
	v_mul_f32_e32 v39, v82, v39
	v_add_f32_e32 v29, v22, v26
	v_sub_f32_e32 v22, v26, v22
	s_delay_alu instid0(VALU_DEP_4) | instskip(NEXT) | instid1(VALU_DEP_4)
	v_dual_sub_f32 v26, v33, v31 :: v_dual_add_f32 v31, v24, v16
	v_dual_sub_f32 v16, v24, v16 :: v_dual_fmac_f32 v39, v83, v38
	v_add_f32_e32 v24, v23, v14
	v_sub_f32_e32 v14, v23, v14
	v_add_f32_e32 v23, v18, v30
	v_sub_f32_e32 v18, v30, v18
	;; [unrolled: 2-line block ×3, first 2 shown]
	v_sub_f32_e32 v22, v20, v22
	v_sub_f32_e32 v46, v21, v20
	;; [unrolled: 1-line block ×3, first 2 shown]
	v_add_f32_e32 v50, v18, v14
	v_sub_f32_e32 v52, v18, v14
	v_sub_f32_e32 v14, v14, v16
	v_add_f32_e32 v30, v9, v3
	v_sub_f32_e32 v3, v9, v3
	v_add_f32_e32 v9, v8, v6
	;; [unrolled: 2-line block ×3, first 2 shown]
	v_dual_sub_f32 v4, v4, v10 :: v_dual_add_f32 v33, v39, v15
	v_dual_sub_f32 v15, v39, v15 :: v_dual_add_f32 v10, v34, v32
	v_dual_sub_f32 v39, v34, v32 :: v_dual_sub_f32 v32, v32, v35
	v_sub_f32_e32 v25, v25, v37
	v_add_f32_e32 v37, v17, v19
	v_sub_f32_e32 v17, v19, v17
	v_add_f32_e32 v19, v12, v0
	v_sub_f32_e32 v0, v12, v0
	v_sub_f32_e32 v18, v16, v18
	v_add_f32_e32 v12, v11, v1
	v_dual_sub_f32 v1, v11, v1 :: v_dual_add_f32 v16, v50, v16
	v_sub_f32_e32 v56, v9, v19
	v_sub_f32_e32 v34, v35, v34
	v_add_f32_e32 v36, v41, v13
	v_dual_add_f32 v10, v35, v10 :: v_dual_add_f32 v35, v40, v20
	v_mul_f32_e32 v40, 0xbf08b237, v44
	v_dual_mul_f32 v44, 0x3f5ff5aa, v46 :: v_dual_sub_f32 v13, v41, v13
	v_sub_f32_e32 v76, v6, v0
	v_sub_f32_e32 v38, v28, v2
	v_add_f32_e32 v58, v4, v6
	v_sub_f32_e32 v74, v4, v6
	v_add_f32_e32 v47, v36, v33
	v_dual_sub_f32 v49, v36, v33 :: v_dual_sub_f32 v36, v37, v36
	v_dual_add_f32 v11, v5, v7 :: v_dual_mul_f32 v6, 0x3f4a47b2, v32
	v_dual_sub_f32 v33, v33, v37 :: v_dual_mul_f32 v32, 0x3d64c772, v34
	v_dual_add_f32 v54, v9, v19 :: v_dual_sub_f32 v5, v7, v5
	v_dual_add_f32 v7, v28, v2 :: v_dual_sub_f32 v2, v2, v29
	v_fma_f32 v44, 0xbeae86e6, v22, -v44
	v_add_f32_e32 v55, v12, v30
	v_sub_f32_e32 v57, v12, v30
	v_sub_f32_e32 v9, v8, v9
	;; [unrolled: 1-line block ×3, first 2 shown]
	v_fmac_f32_e32 v44, 0x3ee1c552, v35
	v_dual_sub_f32 v45, v26, v27 :: v_dual_mul_f32 v2, 0x3f4a47b2, v2
	v_mul_f32_e32 v50, 0x3d64c772, v36
	v_sub_f32_e32 v30, v30, v11
	v_add_f32_e32 v41, v26, v27
	v_dual_add_f32 v21, v24, v31 :: v_dual_sub_f32 v24, v23, v24
	v_dual_sub_f32 v27, v27, v25 :: v_dual_add_f32 v0, v58, v0
	v_dual_add_f32 v51, v17, v13 :: v_dual_fmamk_f32 v34, v34, 0x3d64c772, v6
	v_mul_f32_e32 v33, 0x3f4a47b2, v33
	v_sub_f32_e32 v53, v17, v13
	v_sub_f32_e32 v13, v13, v15
	;; [unrolled: 1-line block ×3, first 2 shown]
	v_dual_sub_f32 v26, v25, v26 :: v_dual_sub_f32 v19, v19, v8
	v_add_f32_e32 v8, v8, v54
	s_delay_alu instid0(VALU_DEP_4)
	v_mul_f32_e32 v82, 0x3f5ff5aa, v13
	v_dual_mul_f32 v30, 0x3f4a47b2, v30 :: v_dual_add_f32 v25, v41, v25
	v_mul_f32_e32 v54, 0x3d64c772, v9
	v_dual_mul_f32 v58, 0xbf08b237, v74 :: v_dual_add_f32 v77, v23, v21
	v_sub_f32_e32 v17, v15, v17
	v_add_f32_e32 v15, v51, v15
	v_mul_f32_e32 v51, 0xbf08b237, v52
	v_fma_f32 v32, 0x3f3bfb3b, v39, -v32
	v_mul_f32_e32 v41, 0xbf08b237, v45
	v_mul_f32_e32 v45, 0x3f5ff5aa, v27
	v_add_f32_e32 v21, v10, v79
	v_dual_sub_f32 v31, v31, v23 :: v_dual_mul_f32 v74, 0x3f5ff5aa, v76
	s_delay_alu instid0(VALU_DEP_4) | instskip(NEXT) | instid1(VALU_DEP_4)
	v_fmamk_f32 v79, v26, 0x3eae86e6, v41
	v_fma_f32 v45, 0xbeae86e6, v26, -v45
	v_fmamk_f32 v26, v36, 0x3d64c772, v33
	v_mul_f32_e32 v52, 0xbf08b237, v53
	v_mul_f32_e32 v53, 0x3f5ff5aa, v14
	v_fma_f32 v14, 0x3f5ff5aa, v14, -v51
	v_add_f32_e32 v29, v29, v7
	v_dual_mul_f32 v7, 0x3d64c772, v28 :: v_dual_fmamk_f32 v28, v28, 0x3d64c772, v2
	v_fma_f32 v2, 0xbf3bfb3b, v38, -v2
	s_delay_alu instid0(VALU_DEP_4) | instskip(NEXT) | instid1(VALU_DEP_4)
	v_fmac_f32_e32 v14, 0x3ee1c552, v16
	v_add_f32_e32 v20, v29, v78
	s_delay_alu instid0(VALU_DEP_4)
	v_fma_f32 v78, 0x3f3bfb3b, v38, -v7
	v_fma_f32 v38, 0xbf3bfb3b, v39, -v6
	v_dual_add_f32 v6, v8, v42 :: v_dual_add_f32 v37, v37, v47
	v_mul_f32_e32 v31, 0x3f4a47b2, v31
	v_mul_f32_e32 v47, 0x3d64c772, v24
	v_fmamk_f32 v39, v22, 0x3eae86e6, v40
	v_fma_f32 v40, 0x3f5ff5aa, v46, -v40
	v_fma_f32 v36, 0x3f3bfb3b, v49, -v50
	v_fmamk_f32 v46, v18, 0x3eae86e6, v51
	v_fma_f32 v13, 0x3f5ff5aa, v13, -v52
	v_fma_f32 v42, 0x3f3bfb3b, v56, -v54
	;; [unrolled: 1-line block ×3, first 2 shown]
	v_fmamk_f32 v8, v8, 0xbf955555, v6
	v_dual_sub_f32 v12, v11, v12 :: v_dual_add_f32 v59, v5, v1
	v_sub_f32_e32 v75, v5, v1
	v_fma_f32 v41, 0x3f5ff5aa, v27, -v41
	v_add_f32_e32 v22, v77, v80
	v_fmamk_f32 v24, v24, 0x3d64c772, v31
	v_fma_f32 v27, 0x3f3bfb3b, v48, -v47
	v_fma_f32 v31, 0xbf3bfb3b, v48, -v31
	v_fmamk_f32 v48, v4, 0x3eae86e6, v58
	v_dual_fmac_f32 v50, 0x3ee1c552, v0 :: v_dual_fmac_f32 v13, 0x3ee1c552, v15
	v_dual_fmamk_f32 v47, v17, 0x3eae86e6, v52 :: v_dual_add_f32 v42, v42, v8
	v_fma_f32 v18, 0xbeae86e6, v18, -v53
	v_dual_sub_f32 v1, v1, v3 :: v_dual_fmac_f32 v46, 0x3ee1c552, v16
	v_fma_f32 v17, 0xbeae86e6, v17, -v82
	v_fma_f32 v52, 0xbeae86e6, v4, -v74
	v_dual_fmamk_f32 v4, v10, 0xbf955555, v21 :: v_dual_add_f32 v11, v11, v55
	v_dual_fmac_f32 v47, 0x3ee1c552, v15 :: v_dual_fmac_f32 v18, 0x3ee1c552, v16
	v_fmac_f32_e32 v41, 0x3ee1c552, v25
	v_dual_mul_f32 v55, 0x3d64c772, v12 :: v_dual_fmamk_f32 v12, v12, 0x3d64c772, v30
	v_dual_fmac_f32 v45, 0x3ee1c552, v25 :: v_dual_fmac_f32 v48, 0x3ee1c552, v0
	v_add_f32_e32 v23, v37, v81
	v_sub_f32_e32 v5, v3, v5
	v_add_f32_e32 v3, v59, v3
	v_mul_f32_e32 v59, 0xbf08b237, v75
	v_mul_f32_e32 v75, 0x3f5ff5aa, v1
	v_fmamk_f32 v10, v37, 0xbf955555, v23
	v_dual_fmac_f32 v17, 0x3ee1c552, v15 :: v_dual_fmac_f32 v52, 0x3ee1c552, v0
	v_add_f32_e32 v7, v11, v43
	v_fma_f32 v51, 0x3f5ff5aa, v1, -v59
	v_fmamk_f32 v1, v29, 0xbf955555, v20
	v_dual_fmac_f32 v79, 0x3ee1c552, v25 :: v_dual_add_f32 v54, v26, v10
	v_fmac_f32_e32 v40, 0x3ee1c552, v35
	v_fma_f32 v30, 0xbf3bfb3b, v57, -v30
	s_delay_alu instid0(VALU_DEP_4) | instskip(SKIP_3) | instid1(VALU_DEP_4)
	v_dual_fmamk_f32 v11, v11, 0xbf955555, v7 :: v_dual_add_f32 v0, v28, v1
	v_mul_f32_e32 v19, 0x3f4a47b2, v19
	v_add_f32_e32 v15, v78, v1
	v_dual_add_f32 v1, v2, v1 :: v_dual_add_f32 v16, v32, v4
	v_add_f32_e32 v58, v12, v11
	v_add_f32_e32 v2, v38, v4
	s_delay_alu instid0(VALU_DEP_4) | instskip(NEXT) | instid1(VALU_DEP_4)
	v_sub_f32_e32 v28, v15, v41
	v_dual_add_f32 v26, v45, v1 :: v_dual_fmac_f32 v51, 0x3ee1c552, v3
	v_fmamk_f32 v9, v9, 0x3d64c772, v19
	v_fma_f32 v19, 0xbf3bfb3b, v56, -v19
	v_add_f32_e32 v56, v36, v10
	v_fma_f32 v33, 0xbf3bfb3b, v49, -v33
	v_sub_f32_e32 v12, v42, v51
	v_sub_f32_e32 v32, v1, v45
	v_fmamk_f32 v49, v5, 0x3eae86e6, v59
	v_add_f32_e32 v59, v30, v11
	v_add_f32_e32 v30, v41, v15
	v_fma_f32 v53, 0xbeae86e6, v5, -v75
	v_fmamk_f32 v5, v77, 0xbf955555, v22
	v_fma_f32 v43, 0x3f3bfb3b, v57, -v55
	v_add_f32_e32 v57, v9, v8
	v_add_f32_e32 v41, v14, v56
	v_fmac_f32_e32 v53, 0x3ee1c552, v3
	v_sub_f32_e32 v1, v56, v14
	v_dual_add_f32 v14, v51, v42 :: v_dual_fmac_f32 v49, 0x3ee1c552, v3
	v_dual_add_f32 v3, v34, v4 :: v_dual_sub_f32 v34, v0, v79
	v_dual_fmac_f32 v39, 0x3ee1c552, v35 :: v_dual_add_f32 v4, v24, v5
	v_add_f32_e32 v55, v27, v5
	v_dual_add_f32 v5, v31, v5 :: v_dual_add_f32 v10, v33, v10
	v_add_f32_e32 v43, v43, v11
	v_dual_add_f32 v19, v19, v8 :: v_dual_add_f32 v8, v49, v57
	v_add_f32_e32 v24, v79, v0
	v_sub_f32_e32 v25, v3, v39
	v_sub_f32_e32 v27, v2, v44
	v_add_f32_e32 v29, v40, v16
	v_sub_f32_e32 v31, v16, v40
	v_add_f32_e32 v33, v44, v2
	v_add_f32_e32 v35, v39, v3
	v_dual_sub_f32 v37, v54, v46 :: v_dual_add_f32 v38, v17, v5
	v_sub_f32_e32 v39, v10, v18
	v_dual_add_f32 v3, v18, v10 :: v_dual_sub_f32 v18, v57, v49
	v_add_f32_e32 v36, v47, v4
	v_sub_f32_e32 v40, v55, v13
	v_add_f32_e32 v0, v13, v55
	v_sub_f32_e32 v2, v5, v17
	v_dual_sub_f32 v4, v4, v47 :: v_dual_add_f32 v5, v46, v54
	v_dual_sub_f32 v9, v58, v48 :: v_dual_add_f32 v10, v53, v19
	v_sub_f32_e32 v11, v59, v52
	v_add_f32_e32 v13, v50, v43
	v_sub_f32_e32 v15, v43, v50
	v_dual_sub_f32 v16, v19, v53 :: v_dual_add_f32 v17, v52, v59
	v_add_f32_e32 v19, v48, v58
	ds_store_2addr_b64 v68, v[20:21], v[24:25] offset1:12
	ds_store_2addr_b64 v68, v[26:27], v[28:29] offset0:24 offset1:36
	ds_store_2addr_b64 v68, v[30:31], v[32:33] offset0:48 offset1:60
	ds_store_b64 v68, v[34:35] offset:576
	ds_store_2addr_b64 v69, v[22:23], v[36:37] offset1:12
	ds_store_2addr_b64 v69, v[38:39], v[40:41] offset0:24 offset1:36
	ds_store_2addr_b64 v69, v[0:1], v[2:3] offset0:48 offset1:60
	ds_store_b64 v69, v[4:5] offset:576
	;; [unrolled: 4-line block ×3, first 2 shown]
	global_wb scope:SCOPE_SE
	s_wait_dscnt 0x0
	s_barrier_signal -1
	s_barrier_wait -1
	global_inv scope:SCOPE_SE
	ds_load_2addr_b64 v[20:23], v70 offset1:84
	ds_load_2addr_b64 v[36:39], v70 offset0:168 offset1:252
	ds_load_2addr_b64 v[32:35], v72 offset0:80 offset1:164
	ds_load_2addr_b64 v[28:31], v73 offset0:120 offset1:204
	ds_load_2addr_b64 v[24:27], v71 offset0:160 offset1:244
	ds_load_b64 v[68:69], v70 offset:6720
	s_and_saveexec_b32 s1, s0
	s_cbranch_execz .LBB0_29
; %bb.28:
	v_add_nc_u32_e32 v4, 0x400, v70
	v_add_nc_u32_e32 v16, 0x1400, v70
	ds_load_2addr_b64 v[0:3], v70 offset0:44 offset1:128
	ds_load_2addr_b64 v[8:11], v72 offset0:124 offset1:208
	;; [unrolled: 1-line block ×5, first 2 shown]
	ds_load_b64 v[66:67], v70 offset:7072
.LBB0_29:
	s_wait_alu 0xfffe
	s_or_b32 exec_lo, exec_lo, s1
	v_mul_u32_u24_e32 v40, 10, v62
	s_delay_alu instid0(VALU_DEP_1)
	v_lshlrev_b32_e32 v56, 3, v40
	s_clause 0x4
	global_load_b128 v[52:55], v56, s[8:9] offset:656
	global_load_b128 v[48:51], v56, s[8:9] offset:672
	;; [unrolled: 1-line block ×5, first 2 shown]
	global_wb scope:SCOPE_SE
	s_wait_loadcnt_dscnt 0x0
	s_barrier_signal -1
	s_barrier_wait -1
	global_inv scope:SCOPE_SE
	v_dual_mul_f32 v74, v53, v23 :: v_dual_mul_f32 v75, v55, v37
	v_mul_f32_e32 v53, v53, v22
	v_dual_mul_f32 v55, v55, v36 :: v_dual_mul_f32 v76, v49, v39
	v_dual_mul_f32 v49, v49, v38 :: v_dual_mul_f32 v82, v27, v57
	;; [unrolled: 1-line block ×4, first 2 shown]
	v_fma_f32 v22, v52, v22, -v74
	s_delay_alu instid0(VALU_DEP_3) | instskip(NEXT) | instid1(VALU_DEP_3)
	v_fma_f32 v32, v50, v32, -v77
	v_fmac_f32_e32 v51, v50, v33
	v_fmac_f32_e32 v53, v52, v23
	v_fma_f32 v23, v54, v36, -v75
	v_fma_f32 v36, v48, v38, -v76
	v_fmac_f32_e32 v55, v54, v37
	v_fma_f32 v37, v26, v56, -v82
	v_mul_f32_e32 v41, v41, v30
	v_mul_f32_e32 v83, v69, v59
	;; [unrolled: 1-line block ×3, first 2 shown]
	v_fma_f32 v33, v44, v34, -v78
	s_delay_alu instid0(VALU_DEP_4) | instskip(SKIP_3) | instid1(VALU_DEP_4)
	v_dual_sub_f32 v38, v23, v37 :: v_dual_fmac_f32 v41, v40, v31
	v_mul_f32_e32 v59, v68, v59
	v_fmac_f32_e32 v49, v48, v39
	v_mul_f32_e32 v57, v26, v57
	v_dual_mul_f32 v85, 0x3e903f40, v38 :: v_dual_add_f32 v52, v51, v41
	s_delay_alu instid0(VALU_DEP_4) | instskip(SKIP_1) | instid1(VALU_DEP_2)
	v_dual_fmac_f32 v59, v69, v58 :: v_dual_sub_f32 v54, v51, v41
	v_dual_add_f32 v26, v53, v21 :: v_dual_mul_f32 v87, 0x3f7d64f0, v38
	v_dual_sub_f32 v31, v53, v59 :: v_dual_mul_f32 v102, 0xbe903f40, v54
	s_delay_alu instid0(VALU_DEP_1) | instskip(SKIP_1) | instid1(VALU_DEP_1)
	v_dual_mul_f32 v74, 0xbf68dda4, v31 :: v_dual_mul_f32 v79, v47, v29
	v_mul_f32_e32 v47, v47, v28
	v_fmac_f32_e32 v47, v46, v29
	v_fma_f32 v29, v40, v30, -v80
	v_mul_f32_e32 v43, v43, v24
	v_fma_f32 v24, v42, v24, -v81
	v_fma_f32 v40, v68, v58, -v83
	v_mul_f32_e32 v45, v45, v34
	v_mul_f32_e32 v81, 0xbf68dda4, v38
	;; [unrolled: 1-line block ×3, first 2 shown]
	v_dual_mul_f32 v38, 0x3f0a6770, v38 :: v_dual_fmac_f32 v57, v27, v56
	v_mul_f32_e32 v76, 0xbf7d64f0, v31
	v_add_f32_e32 v30, v53, v59
	v_fma_f32 v28, v46, v28, -v79
	s_delay_alu instid0(VALU_DEP_4)
	v_dual_sub_f32 v46, v36, v24 :: v_dual_sub_f32 v39, v55, v57
	v_dual_add_f32 v27, v22, v40 :: v_dual_add_f32 v50, v32, v29
	v_fmac_f32_e32 v43, v42, v25
	v_dual_add_f32 v25, v22, v20 :: v_dual_mul_f32 v78, 0xbf4178ce, v31
	v_dual_sub_f32 v22, v22, v40 :: v_dual_fmac_f32 v45, v44, v35
	v_sub_f32_e32 v68, v33, v28
	v_add_f32_e32 v34, v23, v37
	v_add_f32_e32 v56, v33, v28
	;; [unrolled: 1-line block ×4, first 2 shown]
	v_mul_f32_e32 v26, 0xbf0a6770, v31
	v_add_f32_e32 v58, v45, v47
	v_sub_f32_e32 v48, v49, v43
	v_dual_add_f32 v42, v36, v24 :: v_dual_sub_f32 v69, v45, v47
	v_mul_f32_e32 v77, 0xbf7d64f0, v22
	v_mul_f32_e32 v79, 0xbf4178ce, v22
	;; [unrolled: 1-line block ×3, first 2 shown]
	v_dual_mul_f32 v88, 0xbf7d64f0, v48 :: v_dual_add_f32 v35, v55, v57
	v_dual_mul_f32 v82, 0xbf4178ce, v39 :: v_dual_sub_f32 v53, v32, v29
	v_mul_f32_e32 v84, 0x3e903f40, v39
	v_mul_f32_e32 v80, 0xbf68dda4, v39
	;; [unrolled: 1-line block ×4, first 2 shown]
	v_dual_mul_f32 v98, 0x3f7d64f0, v54 :: v_dual_add_f32 v23, v23, v36
	v_dual_mul_f32 v110, 0xbf4178ce, v68 :: v_dual_add_f32 v25, v25, v49
	v_fma_f32 v36, 0x3f575c64, v27, -v26
	v_fmac_f32_e32 v26, 0x3f575c64, v27
	v_mul_f32_e32 v55, 0xbf0a6770, v22
	v_mul_f32_e32 v75, 0xbf68dda4, v22
	;; [unrolled: 1-line block ×3, first 2 shown]
	v_add_f32_e32 v44, v49, v43
	v_add_f32_e32 v26, v26, v20
	v_dual_mul_f32 v86, 0x3f7d64f0, v39 :: v_dual_mul_f32 v99, 0x3f7d64f0, v53
	v_mul_f32_e32 v90, 0x3e903f40, v48
	v_dual_mul_f32 v39, 0x3f0a6770, v39 :: v_dual_mul_f32 v106, 0x3f0a6770, v69
	v_dual_mul_f32 v93, 0x3f68dda4, v46 :: v_dual_mul_f32 v108, 0x3f68dda4, v69
	v_mul_f32_e32 v48, 0xbf4178ce, v48
	v_dual_mul_f32 v96, 0xbf4178ce, v54 :: v_dual_mul_f32 v107, 0xbf4178ce, v69
	v_mul_f32_e32 v97, 0xbf4178ce, v53
	v_dual_mul_f32 v100, 0xbf0a6770, v54 :: v_dual_mul_f32 v101, 0xbf0a6770, v53
	v_mul_f32_e32 v54, 0x3f68dda4, v54
	v_dual_mul_f32 v104, 0xbe903f40, v69 :: v_dual_mul_f32 v105, 0xbe903f40, v68
	v_fma_f32 v112, 0x3ed4b147, v27, -v74
	v_dual_fmamk_f32 v113, v30, 0x3ed4b147, v75 :: v_dual_fmac_f32 v74, 0x3ed4b147, v27
	v_fma_f32 v75, 0x3ed4b147, v30, -v75
	v_fma_f32 v114, 0xbe11bafb, v27, -v76
	v_fmac_f32_e32 v76, 0xbe11bafb, v27
	v_mul_f32_e32 v91, 0x3e903f40, v46
	v_fma_f32 v116, 0xbf27a4f4, v27, -v78
	v_dual_fmamk_f32 v117, v30, 0xbf27a4f4, v79 :: v_dual_fmac_f32 v78, 0xbf27a4f4, v27
	v_mul_f32_e32 v95, 0xbf0a6770, v46
	v_mul_f32_e32 v103, 0xbe903f40, v53
	;; [unrolled: 1-line block ×3, first 2 shown]
	v_fma_f32 v79, 0xbf27a4f4, v30, -v79
	v_add_f32_e32 v78, v78, v20
	v_fma_f32 v118, 0xbf75a155, v27, -v31
	v_fmamk_f32 v119, v30, 0xbf75a155, v22
	v_mul_f32_e32 v109, 0x3f0a6770, v68
	v_fmac_f32_e32 v31, 0xbf75a155, v27
	v_fma_f32 v22, 0xbf75a155, v30, -v22
	v_fma_f32 v27, 0x3ed4b147, v34, -v80
	v_dual_fmac_f32 v80, 0x3ed4b147, v34 :: v_dual_fmamk_f32 v131, v44, 0x3ed4b147, v93
	v_fma_f32 v122, 0xbf75a155, v34, -v84
	v_fmac_f32_e32 v84, 0xbf75a155, v34
	v_mul_f32_e32 v69, 0xbf7d64f0, v69
	v_dual_fmamk_f32 v148, v58, 0xbf27a4f4, v110 :: v_dual_add_f32 v23, v23, v32
	v_mul_f32_e32 v111, 0x3f68dda4, v68
	v_mul_f32_e32 v68, 0xbf7d64f0, v68
	v_fmamk_f32 v115, v30, 0xbe11bafb, v77
	v_mul_f32_e32 v89, 0xbf7d64f0, v46
	v_mul_f32_e32 v46, 0xbf4178ce, v46
	v_fma_f32 v77, 0xbe11bafb, v30, -v77
	v_dual_add_f32 v36, v36, v20 :: v_dual_fmamk_f32 v49, v30, 0x3f575c64, v55
	v_fma_f32 v55, 0x3f575c64, v30, -v55
	v_fma_f32 v120, 0xbf27a4f4, v34, -v82
	v_dual_fmamk_f32 v121, v35, 0xbf27a4f4, v83 :: v_dual_fmac_f32 v82, 0xbf27a4f4, v34
	v_fma_f32 v83, 0xbf27a4f4, v35, -v83
	v_fmamk_f32 v123, v35, 0xbf75a155, v85
	v_fma_f32 v85, 0xbf75a155, v35, -v85
	v_fma_f32 v124, 0xbe11bafb, v34, -v86
	v_fmac_f32_e32 v86, 0xbe11bafb, v34
	v_fma_f32 v126, 0x3f575c64, v34, -v39
	v_fmac_f32_e32 v39, 0x3f575c64, v34
	v_fma_f32 v34, 0x3f575c64, v35, -v38
	v_fma_f32 v128, 0xbf75a155, v42, -v90
	v_fmac_f32_e32 v90, 0xbf75a155, v42
	v_fma_f32 v130, 0x3ed4b147, v42, -v92
	v_dual_fmac_f32 v92, 0x3ed4b147, v42 :: v_dual_fmamk_f32 v149, v58, 0x3ed4b147, v111
	v_fma_f32 v93, 0x3ed4b147, v44, -v93
	v_fma_f32 v132, 0x3f575c64, v42, -v94
	v_dual_fmamk_f32 v133, v44, 0x3f575c64, v95 :: v_dual_fmac_f32 v94, 0x3f575c64, v42
	v_dual_fmamk_f32 v30, v35, 0x3ed4b147, v81 :: v_dual_add_f32 v49, v49, v21
	v_fma_f32 v81, 0x3ed4b147, v35, -v81
	v_fma_f32 v95, 0x3f575c64, v44, -v95
	;; [unrolled: 1-line block ×3, first 2 shown]
	v_fmac_f32_e32 v48, 0xbf27a4f4, v42
	v_fma_f32 v136, 0xbe11bafb, v50, -v98
	v_dual_fmamk_f32 v137, v52, 0xbe11bafb, v99 :: v_dual_fmac_f32 v98, 0xbe11bafb, v50
	v_fma_f32 v99, 0xbe11bafb, v52, -v99
	v_fma_f32 v138, 0x3f575c64, v50, -v100
	v_fmac_f32_e32 v100, 0x3f575c64, v50
	v_fma_f32 v140, 0xbf75a155, v50, -v102
	v_dual_fmamk_f32 v141, v52, 0xbf75a155, v103 :: v_dual_fmac_f32 v102, 0xbf75a155, v50
	v_fma_f32 v103, 0xbf75a155, v52, -v103
	v_fma_f32 v142, 0x3ed4b147, v50, -v54
	v_dual_fmac_f32 v54, 0x3ed4b147, v50 :: v_dual_add_f32 v55, v55, v21
	v_fmamk_f32 v127, v35, 0x3f575c64, v38
	v_dual_fmamk_f32 v38, v44, 0xbe11bafb, v89 :: v_dual_add_f32 v75, v75, v21
	v_fma_f32 v89, 0xbe11bafb, v44, -v89
	v_fma_f32 v143, 0x3f575c64, v56, -v106
	v_fmac_f32_e32 v106, 0x3f575c64, v56
	v_fma_f32 v144, 0xbf27a4f4, v56, -v107
	v_fmac_f32_e32 v107, 0xbf27a4f4, v56
	v_fma_f32 v145, 0x3ed4b147, v56, -v108
	v_dual_fmac_f32 v108, 0x3ed4b147, v56 :: v_dual_add_f32 v25, v25, v51
	v_fma_f32 v146, 0xbe11bafb, v56, -v69
	v_fmac_f32_e32 v69, 0xbe11bafb, v56
	v_fma_f32 v110, 0xbf27a4f4, v58, -v110
	v_fma_f32 v111, 0x3ed4b147, v58, -v111
	v_fmamk_f32 v150, v58, 0xbe11bafb, v68
	v_dual_add_f32 v74, v74, v20 :: v_dual_fmamk_f32 v125, v35, 0xbe11bafb, v87
	v_fma_f32 v87, 0xbe11bafb, v35, -v87
	v_fma_f32 v35, 0xbe11bafb, v42, -v88
	v_fmac_f32_e32 v88, 0xbe11bafb, v42
	v_fmamk_f32 v135, v44, 0xbf27a4f4, v46
	v_fma_f32 v42, 0xbf27a4f4, v44, -v46
	v_fmamk_f32 v46, v52, 0xbf27a4f4, v97
	v_fma_f32 v97, 0xbf27a4f4, v52, -v97
	v_add_f32_e32 v76, v76, v20
	v_fmamk_f32 v129, v44, 0xbf75a155, v91
	v_fma_f32 v91, 0xbf75a155, v44, -v91
	v_fma_f32 v44, 0xbf27a4f4, v50, -v96
	v_dual_fmac_f32 v96, 0xbf27a4f4, v50 :: v_dual_add_f32 v77, v77, v21
	v_fmamk_f32 v139, v52, 0x3f575c64, v101
	v_fma_f32 v101, 0x3f575c64, v52, -v101
	v_dual_fmamk_f32 v50, v52, 0x3ed4b147, v53 :: v_dual_add_f32 v79, v79, v21
	v_fma_f32 v52, 0x3ed4b147, v52, -v53
	v_fma_f32 v53, 0xbf75a155, v56, -v104
	v_fmac_f32_e32 v104, 0xbf75a155, v56
	v_fmamk_f32 v56, v58, 0xbf75a155, v105
	v_fma_f32 v105, 0xbf75a155, v58, -v105
	v_add_f32_e32 v26, v80, v26
	v_dual_add_f32 v32, v119, v21 :: v_dual_fmamk_f32 v147, v58, 0x3f575c64, v109
	v_fma_f32 v109, 0x3f575c64, v58, -v109
	v_fma_f32 v58, 0xbe11bafb, v58, -v68
	v_add_f32_e32 v68, v112, v20
	v_dual_add_f32 v112, v113, v21 :: v_dual_add_f32 v113, v114, v20
	v_dual_add_f32 v114, v115, v21 :: v_dual_add_f32 v115, v116, v20
	;; [unrolled: 1-line block ×4, first 2 shown]
	v_add_f32_e32 v22, v23, v33
	v_dual_add_f32 v20, v31, v20 :: v_dual_add_f32 v23, v25, v45
	v_add_f32_e32 v25, v27, v36
	v_dual_add_f32 v27, v30, v49 :: v_dual_add_f32 v30, v81, v55
	s_delay_alu instid0(VALU_DEP_3) | instskip(SKIP_2) | instid1(VALU_DEP_4)
	v_add_f32_e32 v20, v39, v20
	v_dual_add_f32 v31, v120, v68 :: v_dual_add_f32 v36, v82, v74
	v_dual_add_f32 v45, v83, v75 :: v_dual_add_f32 v22, v22, v28
	;; [unrolled: 1-line block ×5, first 2 shown]
	v_add_f32_e32 v30, v128, v31
	v_dual_add_f32 v68, v85, v77 :: v_dual_add_f32 v77, v87, v79
	v_add_f32_e32 v20, v48, v20
	v_dual_add_f32 v32, v127, v32 :: v_dual_add_f32 v21, v34, v21
	v_dual_add_f32 v23, v23, v47 :: v_dual_add_f32 v22, v22, v29
	;; [unrolled: 1-line block ×4, first 2 shown]
	v_add_f32_e32 v34, v91, v45
	v_dual_add_f32 v51, v123, v114 :: v_dual_add_f32 v38, v92, v55
	v_add_f32_e32 v35, v130, v49
	v_add_f32_e32 v31, v129, v33
	v_dual_add_f32 v33, v90, v36 :: v_dual_add_f32 v74, v124, v115
	s_delay_alu instid0(VALU_DEP_4)
	v_dual_add_f32 v75, v125, v116 :: v_dual_add_f32 v36, v131, v51
	v_add_f32_e32 v51, v95, v77
	v_add_f32_e32 v49, v94, v76
	v_dual_add_f32 v29, v136, v30 :: v_dual_add_f32 v30, v137, v31
	v_add_f32_e32 v31, v98, v33
	v_add_f32_e32 v23, v23, v41
	v_dual_add_f32 v33, v99, v34 :: v_dual_add_f32 v34, v138, v35
	v_dual_add_f32 v32, v135, v32 :: v_dual_add_f32 v47, v133, v75
	v_add_f32_e32 v21, v42, v21
	v_dual_add_f32 v35, v139, v36 :: v_dual_add_f32 v36, v100, v38
	v_dual_add_f32 v25, v44, v25 :: v_dual_add_f32 v44, v103, v51
	;; [unrolled: 1-line block ×3, first 2 shown]
	v_add_f32_e32 v45, v132, v74
	v_dual_add_f32 v49, v22, v24 :: v_dual_add_f32 v22, v104, v26
	s_delay_alu instid0(VALU_DEP_3)
	v_add_f32_e32 v38, v101, v39
	v_add_f32_e32 v26, v106, v31
	;; [unrolled: 1-line block ×3, first 2 shown]
	v_dual_add_f32 v23, v105, v28 :: v_dual_add_f32 v28, v144, v34
	v_dual_add_f32 v55, v134, v78 :: v_dual_add_f32 v48, v52, v21
	v_add_f32_e32 v27, v46, v27
	v_dual_add_f32 v39, v140, v45 :: v_dual_add_f32 v46, v50, v32
	v_add_f32_e32 v41, v141, v47
	s_delay_alu instid0(VALU_DEP_4)
	v_add_f32_e32 v45, v142, v55
	v_dual_add_f32 v47, v54, v20 :: v_dual_add_f32 v20, v53, v25
	v_add_f32_e32 v21, v56, v27
	v_add_f32_e32 v25, v147, v30
	;; [unrolled: 1-line block ×9, first 2 shown]
	v_dual_add_f32 v31, v110, v38 :: v_dual_add_f32 v38, v69, v47
	s_delay_alu instid0(VALU_DEP_2)
	v_dual_add_f32 v37, v150, v46 :: v_dual_add_f32 v40, v41, v40
	v_add_f32_e32 v32, v145, v39
	v_dual_add_f32 v24, v143, v29 :: v_dual_add_f32 v29, v148, v35
	v_add_f32_e32 v35, v111, v44
	v_add_f32_e32 v39, v58, v48
	;; [unrolled: 1-line block ×3, first 2 shown]
	ds_store_2addr_b64 v70, v[24:25], v[28:29] offset0:168 offset1:252
	ds_store_2addr_b64 v72, v[32:33], v[36:37] offset0:80 offset1:164
	;; [unrolled: 1-line block ×4, first 2 shown]
	ds_store_2addr_b64 v70, v[40:41], v[20:21] offset1:84
	ds_store_b64 v70, v[22:23] offset:6720
	s_and_saveexec_b32 s1, s0
	s_cbranch_execz .LBB0_31
; %bb.30:
	v_subrev_nc_u32_e32 v20, 40, v62
	v_dual_mov_b32 v21, 0 :: v_dual_add_nc_u32 v40, 0x400, v70
	s_delay_alu instid0(VALU_DEP_2) | instskip(NEXT) | instid1(VALU_DEP_1)
	v_cndmask_b32_e64 v20, v20, v63, s0
	v_mul_i32_i24_e32 v20, 10, v20
	s_delay_alu instid0(VALU_DEP_1) | instskip(NEXT) | instid1(VALU_DEP_1)
	v_lshlrev_b64_e32 v[20:21], 3, v[20:21]
	v_add_co_u32 v36, s0, s8, v20
	s_wait_alu 0xf1ff
	s_delay_alu instid0(VALU_DEP_2)
	v_add_co_ci_u32_e64 v37, s0, s9, v21, s0
	s_clause 0x4
	global_load_b128 v[20:23], v[36:37], off offset:720
	global_load_b128 v[24:27], v[36:37], off offset:656
	;; [unrolled: 1-line block ×5, first 2 shown]
	v_add_nc_u32_e32 v41, 0x800, v70
	v_add_nc_u32_e32 v42, 0x1000, v70
	s_wait_loadcnt 0x4
	v_dual_mul_f32 v46, v18, v21 :: v_dual_add_nc_u32 v43, 0x1400, v70
	v_mul_f32_e32 v44, v66, v23
	s_wait_loadcnt 0x3
	v_mul_f32_e32 v45, v2, v25
	s_wait_loadcnt 0x2
	v_dual_mul_f32 v25, v3, v25 :: v_dual_mul_f32 v48, v16, v31
	v_dual_mul_f32 v23, v67, v23 :: v_dual_mul_f32 v50, v14, v29
	v_dual_mul_f32 v47, v4, v27 :: v_dual_fmac_f32 v44, v67, v22
	v_dual_mul_f32 v27, v5, v27 :: v_dual_fmac_f32 v46, v19, v20
	s_wait_loadcnt 0x0
	v_dual_mul_f32 v21, v19, v21 :: v_dual_mul_f32 v52, v12, v39
	v_dual_mul_f32 v49, v6, v33 :: v_dual_fmac_f32 v48, v17, v30
	v_mul_f32_e32 v33, v7, v33
	v_dual_mul_f32 v31, v17, v31 :: v_dual_fmac_f32 v50, v15, v28
	v_fmac_f32_e32 v45, v3, v24
	v_fma_f32 v2, v2, v24, -v25
	v_fma_f32 v22, v66, v22, -v23
	v_mul_f32_e32 v51, v8, v35
	v_fma_f32 v3, v4, v26, -v27
	v_fma_f32 v18, v18, v20, -v21
	v_mul_f32_e32 v35, v9, v35
	v_mul_f32_e32 v39, v13, v39
	v_fma_f32 v16, v16, v30, -v31
	v_fmac_f32_e32 v52, v13, v38
	v_add_f32_e32 v24, v3, v18
	v_fma_f32 v4, v6, v32, -v33
	v_mul_f32_e32 v29, v15, v29
	v_fmac_f32_e32 v47, v5, v26
	v_fma_f32 v5, v8, v34, -v35
	v_fma_f32 v8, v12, v38, -v39
	v_mul_f32_e32 v53, v10, v37
	v_dual_mul_f32 v37, v11, v37 :: v_dual_add_f32 v26, v4, v16
	v_fma_f32 v6, v14, v28, -v29
	v_sub_f32_e32 v14, v4, v16
	v_sub_f32_e32 v12, v3, v18
	s_delay_alu instid0(VALU_DEP_3) | instskip(SKIP_3) | instid1(VALU_DEP_4)
	v_dual_add_f32 v28, v5, v6 :: v_dual_fmac_f32 v49, v7, v32
	v_add_f32_e32 v32, v1, v45
	v_fma_f32 v7, v10, v36, -v37
	v_dual_sub_f32 v10, v2, v22 :: v_dual_sub_f32 v23, v45, v44
	v_dual_sub_f32 v27, v49, v48 :: v_dual_mul_f32 v74, 0xbf4178ce, v14
	s_delay_alu instid0(VALU_DEP_3)
	v_sub_f32_e32 v20, v7, v8
	v_fmac_f32_e32 v53, v11, v36
	v_add_f32_e32 v30, v7, v8
	v_sub_f32_e32 v25, v47, v46
	v_mul_f32_e32 v72, 0xbe903f40, v10
	v_dual_mul_f32 v76, 0xbf7d64f0, v20 :: v_dual_add_f32 v11, v47, v46
	v_dual_mul_f32 v38, 0xbf68dda4, v23 :: v_dual_fmac_f32 v51, v9, v34
	v_dual_add_f32 v21, v2, v22 :: v_dual_mul_f32 v68, 0xbf0a6770, v27
	v_add_f32_e32 v2, v0, v2
	s_delay_alu instid0(VALU_DEP_3) | instskip(SKIP_2) | instid1(VALU_DEP_3)
	v_dual_mul_f32 v34, 0xbf27a4f4, v11 :: v_dual_sub_f32 v29, v51, v50
	v_dual_mul_f32 v78, 0x3f0a6770, v25 :: v_dual_add_f32 v13, v49, v48
	v_add_f32_e32 v15, v51, v50
	v_dual_add_f32 v9, v45, v44 :: v_dual_mul_f32 v54, 0x3f7d64f0, v29
	s_delay_alu instid0(VALU_DEP_3)
	v_dual_sub_f32 v17, v5, v6 :: v_dual_mul_f32 v58, 0x3f575c64, v13
	v_dual_mul_f32 v35, 0xbf75a155, v13 :: v_dual_add_f32 v2, v2, v3
	v_dual_add_f32 v19, v53, v52 :: v_dual_mul_f32 v66, 0xbf4178ce, v23
	v_dual_sub_f32 v31, v53, v52 :: v_dual_mul_f32 v80, 0x3f68dda4, v29
	v_mul_f32_e32 v36, 0xbe11bafb, v15
	v_dual_mul_f32 v33, 0x3ed4b147, v9 :: v_dual_add_f32 v32, v32, v47
	v_dual_mul_f32 v39, 0xbf4178ce, v25 :: v_dual_mul_f32 v86, 0xbf4178ce, v20
	v_mul_f32_e32 v56, 0xbf27a4f4, v9
	v_dual_mul_f32 v57, 0xbe11bafb, v11 :: v_dual_add_f32 v2, v2, v4
	v_mul_f32_e32 v77, 0xbe903f40, v23
	v_dual_mul_f32 v85, 0xbf0a6770, v17 :: v_dual_mul_f32 v92, 0xbf0a6770, v10
	v_dual_mul_f32 v87, 0xbf7d64f0, v23 :: v_dual_mul_f32 v94, 0xbf7d64f0, v14
	v_dual_mul_f32 v90, 0xbf0a6770, v29 :: v_dual_mul_f32 v23, 0xbf0a6770, v23
	v_dual_mul_f32 v45, 0x3e903f40, v27 :: v_dual_mul_f32 v88, 0x3e903f40, v25
	v_dual_mul_f32 v55, 0x3f0a6770, v31 :: v_dual_add_f32 v32, v32, v49
	s_delay_alu instid0(VALU_DEP_2)
	v_dual_mul_f32 v59, 0xbf75a155, v15 :: v_dual_fmamk_f32 v102, v26, 0xbf75a155, v45
	v_dual_mul_f32 v63, 0x3ed4b147, v19 :: v_dual_fmamk_f32 v100, v21, 0x3ed4b147, v38
	v_dual_mul_f32 v71, 0x3f68dda4, v31 :: v_dual_mul_f32 v84, 0x3f68dda4, v14
	v_mul_f32_e32 v79, 0xbf4178ce, v27
	v_dual_mul_f32 v81, 0xbf7d64f0, v31 :: v_dual_mul_f32 v82, 0xbf7d64f0, v10
	v_mul_f32_e32 v91, 0xbf4178ce, v31
	v_dual_mul_f32 v31, 0xbe903f40, v31 :: v_dual_add_f32 v2, v2, v5
	v_dual_fmamk_f32 v101, v24, 0xbf27a4f4, v39 :: v_dual_fmamk_f32 v110, v21, 0xbf27a4f4, v66
	v_fmamk_f32 v112, v26, 0x3f575c64, v68
	v_fma_f32 v66, 0xbf27a4f4, v21, -v66
	v_mul_f32_e32 v93, 0xbf68dda4, v12
	v_fma_f32 v135, 0x3f575c64, v21, -v23
	v_fmamk_f32 v3, v10, 0x3f68dda4, v33
	v_dual_fmac_f32 v33, 0xbf68dda4, v10 :: v_dual_add_f32 v2, v2, v7
	v_fmac_f32_e32 v23, 0x3f575c64, v21
	v_fmamk_f32 v105, v10, 0x3f4178ce, v56
	v_fmac_f32_e32 v56, 0xbf4178ce, v10
	v_fma_f32 v10, 0x3ed4b147, v21, -v38
	v_dual_fmamk_f32 v38, v9, 0x3f575c64, v92 :: v_dual_mul_f32 v37, 0x3f575c64, v19
	v_fmamk_f32 v104, v30, 0x3f575c64, v55
	v_mul_f32_e32 v67, 0x3f7d64f0, v25
	v_dual_mul_f32 v69, 0xbe903f40, v29 :: v_dual_mul_f32 v96, 0xbe903f40, v20
	v_mul_f32_e32 v73, 0x3f0a6770, v12
	v_dual_mul_f32 v83, 0x3e903f40, v12 :: v_dual_fmamk_f32 v108, v17, 0x3e903f40, v59
	v_dual_mul_f32 v89, 0x3f68dda4, v27 :: v_dual_add_f32 v56, v1, v56
	v_dual_mul_f32 v25, 0xbf68dda4, v25 :: v_dual_add_f32 v10, v0, v10
	v_dual_mul_f32 v27, 0xbf7d64f0, v27 :: v_dual_fmamk_f32 v98, v17, 0xbf7d64f0, v36
	v_dual_mul_f32 v29, 0xbf4178ce, v29 :: v_dual_add_f32 v38, v1, v38
	v_dual_fmamk_f32 v97, v14, 0xbe903f40, v35 :: v_dual_add_f32 v32, v32, v51
	v_fmamk_f32 v106, v12, 0xbf7d64f0, v57
	v_dual_fmamk_f32 v115, v9, 0xbf75a155, v72 :: v_dual_fmamk_f32 v126, v11, 0xbf75a155, v83
	v_fma_f32 v120, 0xbf75a155, v21, -v77
	v_dual_fmac_f32 v57, 0x3f7d64f0, v12 :: v_dual_fmac_f32 v36, 0x3f7d64f0, v17
	v_fma_f32 v4, 0xbf75a155, v9, -v72
	v_fmamk_f32 v47, v12, 0x3f4178ce, v34
	v_fmac_f32_e32 v34, 0xbf4178ce, v12
	v_fma_f32 v12, 0xbf27a4f4, v24, -v39
	v_add_f32_e32 v66, v0, v66
	v_dual_add_f32 v4, v1, v4 :: v_dual_fmamk_f32 v39, v11, 0x3ed4b147, v93
	v_mul_f32_e32 v75, 0x3f68dda4, v17
	v_fmamk_f32 v99, v20, 0xbf0a6770, v37
	v_fmamk_f32 v109, v20, 0xbf68dda4, v63
	;; [unrolled: 1-line block ×3, first 2 shown]
	v_dual_fmamk_f32 v114, v30, 0x3ed4b147, v71 :: v_dual_fmamk_f32 v127, v13, 0x3ed4b147, v84
	v_dual_fmamk_f32 v119, v19, 0xbe11bafb, v76 :: v_dual_add_f32 v10, v12, v10
	v_fma_f32 v121, 0x3f575c64, v24, -v78
	v_fma_f32 v122, 0xbf27a4f4, v26, -v79
	;; [unrolled: 1-line block ×7, first 2 shown]
	v_dual_fmamk_f32 v129, v19, 0xbf27a4f4, v86 :: v_dual_add_f32 v32, v32, v53
	v_fma_f32 v130, 0xbe11bafb, v21, -v87
	v_mul_f32_e32 v95, 0xbf4178ce, v17
	v_fma_f32 v131, 0xbf75a155, v24, -v88
	v_fmac_f32_e32 v59, 0xbe903f40, v17
	v_fma_f32 v132, 0x3ed4b147, v26, -v89
	v_fma_f32 v133, 0x3f575c64, v28, -v90
	v_fma_f32 v134, 0xbf27a4f4, v30, -v91
	v_fmac_f32_e32 v35, 0x3e903f40, v14
	v_fma_f32 v17, 0xbe11bafb, v28, -v54
	v_fma_f32 v136, 0x3ed4b147, v24, -v25
	;; [unrolled: 1-line block ×6, first 2 shown]
	v_fmac_f32_e32 v78, 0x3f575c64, v24
	v_fmac_f32_e32 v79, 0xbf27a4f4, v26
	;; [unrolled: 1-line block ×3, first 2 shown]
	v_dual_fmac_f32 v63, 0x3f68dda4, v20 :: v_dual_add_f32 v12, v39, v38
	v_fmac_f32_e32 v81, 0xbe11bafb, v30
	v_fmac_f32_e32 v88, 0xbf75a155, v24
	v_fmac_f32_e32 v37, 0x3f0a6770, v20
	v_fma_f32 v20, 0x3f575c64, v30, -v55
	v_fmac_f32_e32 v89, 0x3ed4b147, v26
	v_fmac_f32_e32 v90, 0x3f575c64, v28
	v_dual_fmac_f32 v91, 0xbf27a4f4, v30 :: v_dual_add_f32 v32, v32, v52
	v_fmac_f32_e32 v25, 0x3ed4b147, v24
	v_dual_fmac_f32 v27, 0xbe11bafb, v26 :: v_dual_add_f32 v2, v2, v8
	;; [unrolled: 2-line block ×3, first 2 shown]
	v_dual_fmamk_f32 v103, v28, 0xbe11bafb, v54 :: v_dual_add_f32 v28, v1, v115
	v_fmamk_f32 v107, v14, 0x3f0a6770, v58
	v_fmac_f32_e32 v58, 0xbf0a6770, v14
	v_fma_f32 v14, 0xbf75a155, v26, -v45
	v_add_f32_e32 v26, v0, v110
	v_fmamk_f32 v111, v24, 0xbe11bafb, v67
	v_fma_f32 v67, 0xbe11bafb, v24, -v67
	v_add_f32_e32 v24, v1, v105
	v_fma_f32 v49, 0x3f575c64, v11, -v73
	v_fmamk_f32 v116, v11, 0x3f575c64, v73
	v_fmamk_f32 v125, v9, 0xbe11bafb, v82
	;; [unrolled: 1-line block ×3, first 2 shown]
	v_dual_fmamk_f32 v128, v15, 0x3f575c64, v85 :: v_dual_add_f32 v33, v1, v33
	v_fma_f32 v73, 0x3ed4b147, v15, -v75
	v_fmac_f32_e32 v77, 0xbf75a155, v21
	v_fma_f32 v75, 0xbe11bafb, v9, -v82
	v_dual_fmac_f32 v87, 0xbe11bafb, v21 :: v_dual_add_f32 v10, v14, v10
	v_fma_f32 v9, 0x3f575c64, v9, -v92
	v_add_f32_e32 v92, v0, v135
	v_add_f32_e32 v4, v49, v4
	v_fma_f32 v82, 0x3ed4b147, v13, -v84
	v_fma_f32 v84, 0xbf27a4f4, v19, -v86
	v_add_f32_e32 v3, v1, v3
	v_add_f32_e32 v21, v0, v100
	v_dual_add_f32 v86, v0, v130 :: v_dual_fmamk_f32 v117, v13, 0xbf27a4f4, v74
	v_fmamk_f32 v54, v15, 0xbf27a4f4, v95
	v_fma_f32 v74, 0xbe11bafb, v19, -v76
	v_fma_f32 v76, 0xbf75a155, v11, -v83
	;; [unrolled: 1-line block ×3, first 2 shown]
	v_add_f32_e32 v5, v0, v77
	v_add_f32_e32 v51, v1, v75
	;; [unrolled: 1-line block ×4, first 2 shown]
	v_dual_add_f32 v4, v72, v4 :: v_dual_add_f32 v33, v34, v33
	v_dual_add_f32 v34, v136, v92 :: v_dual_add_f32 v85, v1, v125
	;; [unrolled: 1-line block ×3, first 2 shown]
	v_add_f32_e32 v17, v32, v50
	s_delay_alu instid0(VALU_DEP_3)
	v_dual_add_f32 v14, v137, v34 :: v_dual_fmamk_f32 v55, v19, 0xbf75a155, v96
	v_add_f32_e32 v0, v25, v0
	v_add_f32_e32 v1, v1, v9
	;; [unrolled: 1-line block ×5, first 2 shown]
	v_dual_add_f32 v28, v57, v56 :: v_dual_add_f32 v47, v126, v85
	v_fma_f32 v11, 0x3ed4b147, v11, -v93
	v_add_f32_e32 v56, v131, v86
	s_delay_alu instid0(VALU_DEP_3)
	v_dual_add_f32 v38, v88, v75 :: v_dual_add_f32 v25, v58, v28
	v_add_f32_e32 v10, v20, v10
	v_dual_add_f32 v32, v73, v4 :: v_dual_add_f32 v33, v35, v33
	v_dual_add_f32 v20, v17, v48 :: v_dual_add_f32 v23, v111, v26
	v_add_f32_e32 v26, v121, v30
	v_dual_fmamk_f32 v45, v13, 0xbe11bafb, v94 :: v_dual_add_f32 v30, v67, v66
	v_fma_f32 v13, 0xbe11bafb, v13, -v94
	v_add_f32_e32 v0, v27, v0
	v_add_f32_e32 v1, v11, v1
	;; [unrolled: 1-line block ×4, first 2 shown]
	v_dual_add_f32 v23, v117, v24 :: v_dual_add_f32 v24, v122, v26
	v_add_f32_e32 v26, v68, v30
	v_add_f32_e32 v30, v132, v56
	;; [unrolled: 1-line block ×3, first 2 shown]
	v_dual_add_f32 v8, v89, v38 :: v_dual_add_f32 v7, v76, v51
	v_add_f32_e32 v14, v138, v14
	s_delay_alu instid0(VALU_DEP_4) | instskip(SKIP_1) | instid1(VALU_DEP_4)
	v_add_f32_e32 v27, v133, v30
	v_dual_add_f32 v30, v2, v6 :: v_dual_add_f32 v1, v13, v1
	v_add_f32_e32 v35, v90, v8
	v_add_f32_e32 v13, v113, v21
	;; [unrolled: 1-line block ×4, first 2 shown]
	v_dual_add_f32 v24, v59, v25 :: v_dual_add_f32 v25, v69, v26
	v_add_f32_e32 v7, v82, v7
	v_add_f32_e32 v28, v127, v47
	v_add_f32_e32 v12, v54, v12
	v_add_f32_e32 v16, v30, v16
	v_add_f32_e32 v6, v71, v25
	v_dual_add_f32 v5, v78, v5 :: v_dual_add_f32 v34, v83, v7
	v_fma_f32 v15, 0xbf27a4f4, v15, -v95
	v_dual_add_f32 v9, v102, v9 :: v_dual_add_f32 v4, v124, v23
	s_delay_alu instid0(VALU_DEP_3)
	v_dual_add_f32 v5, v79, v5 :: v_dual_add_f32 v26, v128, v28
	v_dual_add_f32 v23, v16, v18 :: v_dual_add_f32 v16, v91, v35
	;; [unrolled: 1-line block ×5, first 2 shown]
	v_add_f32_e32 v28, v36, v33
	v_add_f32_e32 v33, v80, v5
	s_delay_alu instid0(VALU_DEP_4) | instskip(SKIP_1) | instid1(VALU_DEP_3)
	v_dual_add_f32 v36, v15, v1 :: v_dual_add_f32 v3, v98, v3
	v_dual_add_f32 v29, v29, v0 :: v_dual_add_f32 v8, v134, v27
	;; [unrolled: 1-line block ×3, first 2 shown]
	v_fma_f32 v19, 0xbf75a155, v19, -v96
	s_delay_alu instid0(VALU_DEP_3) | instskip(SKIP_1) | instid1(VALU_DEP_4)
	v_add_f32_e32 v18, v31, v29
	v_dual_add_f32 v1, v99, v3 :: v_dual_add_f32 v0, v104, v9
	v_add_f32_e32 v3, v109, v11
	v_add_f32_e32 v9, v129, v26
	;; [unrolled: 1-line block ×7, first 2 shown]
	v_dual_add_f32 v21, v20, v44 :: v_dual_add_f32 v20, v23, v22
	v_add_f32_e32 v19, v19, v36
	ds_store_2addr_b64 v40, v[10:11], v[8:9] offset0:84 offset1:168
	ds_store_2addr_b64 v41, v[6:7], v[4:5] offset0:124 offset1:208
	;; [unrolled: 1-line block ×5, first 2 shown]
	ds_store_b64 v70, v[18:19] offset:7072
.LBB0_31:
	s_wait_alu 0xfffe
	s_or_b32 exec_lo, exec_lo, s1
	global_wb scope:SCOPE_SE
	s_wait_dscnt 0x0
	s_barrier_signal -1
	s_barrier_wait -1
	global_inv scope:SCOPE_SE
	s_and_saveexec_b32 s0, vcc_lo
	s_cbranch_execz .LBB0_33
; %bb.32:
	v_mul_lo_u32 v0, s3, v64
	v_mul_lo_u32 v1, s2, v65
	v_mad_co_u64_u32 v[4:5], null, s2, v64, 0
	v_dual_mov_b32 v63, 0 :: v_dual_add_nc_u32 v10, 44, v62
	v_lshl_add_u32 v18, v62, 3, 0
	v_lshlrev_b64_e32 v[8:9], 3, v[60:61]
	s_delay_alu instid0(VALU_DEP_3)
	v_dual_mov_b32 v11, v63 :: v_dual_add_nc_u32 v12, 0x58, v62
	v_add3_u32 v5, v5, v1, v0
	ds_load_2addr_b64 v[0:3], v18 offset1:44
	v_lshlrev_b64_e32 v[16:17], 3, v[62:63]
	v_mov_b32_e32 v13, v63
	v_lshlrev_b64_e32 v[10:11], 3, v[10:11]
	v_lshlrev_b64_e32 v[14:15], 3, v[4:5]
	ds_load_2addr_b64 v[4:7], v18 offset0:88 offset1:132
	v_add_nc_u32_e32 v19, 0x800, v18
	v_add_co_u32 v14, vcc_lo, s6, v14
	s_wait_alu 0xfffd
	v_add_co_ci_u32_e32 v15, vcc_lo, s7, v15, vcc_lo
	s_delay_alu instid0(VALU_DEP_2) | instskip(SKIP_2) | instid1(VALU_DEP_3)
	v_add_co_u32 v20, vcc_lo, v14, v8
	v_add_nc_u32_e32 v14, 0x84, v62
	s_wait_alu 0xfffd
	v_add_co_ci_u32_e32 v21, vcc_lo, v15, v9, vcc_lo
	v_mov_b32_e32 v15, v63
	v_lshlrev_b64_e32 v[8:9], 3, v[12:13]
	v_add_co_u32 v12, vcc_lo, v20, v16
	v_add_nc_u32_e32 v16, 0xb0, v62
	s_wait_alu 0xfffd
	v_add_co_ci_u32_e32 v13, vcc_lo, v21, v17, vcc_lo
	v_add_co_u32 v10, vcc_lo, v20, v10
	v_lshlrev_b64_e32 v[14:15], 3, v[14:15]
	s_wait_alu 0xfffd
	v_add_co_ci_u32_e32 v11, vcc_lo, v21, v11, vcc_lo
	v_add_co_u32 v8, vcc_lo, v20, v8
	s_wait_alu 0xfffd
	v_add_co_ci_u32_e32 v9, vcc_lo, v21, v9, vcc_lo
	v_mov_b32_e32 v17, v63
	v_add_co_u32 v14, vcc_lo, v20, v14
	s_wait_alu 0xfffd
	v_add_co_ci_u32_e32 v15, vcc_lo, v21, v15, vcc_lo
	s_wait_dscnt 0x1
	s_clause 0x1
	global_store_b64 v[12:13], v[0:1], off
	global_store_b64 v[10:11], v[2:3], off
	s_wait_dscnt 0x0
	s_clause 0x1
	global_store_b64 v[8:9], v[4:5], off
	global_store_b64 v[14:15], v[6:7], off
	v_add_nc_u32_e32 v6, 0xdc, v62
	v_lshlrev_b64_e32 v[4:5], 3, v[16:17]
	v_dual_mov_b32 v7, v63 :: v_dual_add_nc_u32 v8, 0x108, v62
	ds_load_2addr_b64 v[0:3], v18 offset0:176 offset1:220
	v_dual_mov_b32 v9, v63 :: v_dual_add_nc_u32 v14, 0x134, v62
	v_add_co_u32 v10, vcc_lo, v20, v4
	s_wait_alu 0xfffd
	v_add_co_ci_u32_e32 v11, vcc_lo, v21, v5, vcc_lo
	v_lshlrev_b64_e32 v[12:13], 3, v[6:7]
	ds_load_2addr_b64 v[4:7], v19 offset0:8 offset1:52
	v_dual_mov_b32 v15, v63 :: v_dual_add_nc_u32 v16, 0x160, v62
	v_lshlrev_b64_e32 v[8:9], 3, v[8:9]
	v_add_co_u32 v12, vcc_lo, v20, v12
	s_delay_alu instid0(VALU_DEP_3) | instskip(SKIP_2) | instid1(VALU_DEP_4)
	v_lshlrev_b64_e32 v[14:15], 3, v[14:15]
	s_wait_alu 0xfffd
	v_add_co_ci_u32_e32 v13, vcc_lo, v21, v13, vcc_lo
	v_add_co_u32 v8, vcc_lo, v20, v8
	s_wait_alu 0xfffd
	v_add_co_ci_u32_e32 v9, vcc_lo, v21, v9, vcc_lo
	v_add_co_u32 v14, vcc_lo, v20, v14
	s_wait_alu 0xfffd
	v_add_co_ci_u32_e32 v15, vcc_lo, v21, v15, vcc_lo
	s_wait_dscnt 0x1
	s_clause 0x1
	global_store_b64 v[10:11], v[0:1], off
	global_store_b64 v[12:13], v[2:3], off
	s_wait_dscnt 0x0
	s_clause 0x1
	global_store_b64 v[8:9], v[4:5], off
	global_store_b64 v[14:15], v[6:7], off
	v_lshlrev_b64_e32 v[4:5], 3, v[16:17]
	v_dual_mov_b32 v7, v63 :: v_dual_add_nc_u32 v6, 0x18c, v62
	ds_load_2addr_b64 v[0:3], v19 offset0:96 offset1:140
	v_dual_mov_b32 v9, v63 :: v_dual_add_nc_u32 v8, 0x1b8, v62
	v_add_co_u32 v10, vcc_lo, v20, v4
	s_wait_alu 0xfffd
	v_add_co_ci_u32_e32 v11, vcc_lo, v21, v5, vcc_lo
	v_lshlrev_b64_e32 v[12:13], 3, v[6:7]
	ds_load_2addr_b64 v[4:7], v19 offset0:184 offset1:228
	v_dual_mov_b32 v15, v63 :: v_dual_add_nc_u32 v14, 0x1e4, v62
	v_lshlrev_b64_e32 v[8:9], 3, v[8:9]
	v_add_nc_u32_e32 v16, 0x210, v62
	v_add_co_u32 v12, vcc_lo, v20, v12
	s_delay_alu instid0(VALU_DEP_4)
	v_lshlrev_b64_e32 v[14:15], 3, v[14:15]
	s_wait_alu 0xfffd
	v_add_co_ci_u32_e32 v13, vcc_lo, v21, v13, vcc_lo
	v_add_co_u32 v8, vcc_lo, v20, v8
	s_wait_alu 0xfffd
	v_add_co_ci_u32_e32 v9, vcc_lo, v21, v9, vcc_lo
	v_add_co_u32 v14, vcc_lo, v20, v14
	s_wait_alu 0xfffd
	v_add_co_ci_u32_e32 v15, vcc_lo, v21, v15, vcc_lo
	s_wait_dscnt 0x1
	s_clause 0x1
	global_store_b64 v[10:11], v[0:1], off
	global_store_b64 v[12:13], v[2:3], off
	s_wait_dscnt 0x0
	s_clause 0x1
	global_store_b64 v[8:9], v[4:5], off
	global_store_b64 v[14:15], v[6:7], off
	v_mov_b32_e32 v7, v63
	v_lshlrev_b64_e32 v[4:5], 3, v[16:17]
	v_add_nc_u32_e32 v19, 0x1000, v18
	v_dual_mov_b32 v9, v63 :: v_dual_add_nc_u32 v6, 0x23c, v62
	v_dual_mov_b32 v15, v63 :: v_dual_add_nc_u32 v8, 0x268, v62
	ds_load_2addr_b64 v[0:3], v19 offset0:16 offset1:60
	v_add_co_u32 v10, vcc_lo, v20, v4
	s_wait_alu 0xfffd
	v_add_co_ci_u32_e32 v11, vcc_lo, v21, v5, vcc_lo
	v_lshlrev_b64_e32 v[12:13], 3, v[6:7]
	ds_load_2addr_b64 v[4:7], v19 offset0:104 offset1:148
	v_add_nc_u32_e32 v14, 0x294, v62
	v_lshlrev_b64_e32 v[8:9], 3, v[8:9]
	v_add_nc_u32_e32 v16, 0x2c0, v62
	v_add_co_u32 v12, vcc_lo, v20, v12
	s_delay_alu instid0(VALU_DEP_4)
	v_lshlrev_b64_e32 v[14:15], 3, v[14:15]
	s_wait_alu 0xfffd
	v_add_co_ci_u32_e32 v13, vcc_lo, v21, v13, vcc_lo
	v_add_co_u32 v8, vcc_lo, v20, v8
	s_wait_alu 0xfffd
	v_add_co_ci_u32_e32 v9, vcc_lo, v21, v9, vcc_lo
	v_add_co_u32 v14, vcc_lo, v20, v14
	s_wait_alu 0xfffd
	v_add_co_ci_u32_e32 v15, vcc_lo, v21, v15, vcc_lo
	s_wait_dscnt 0x1
	s_clause 0x1
	global_store_b64 v[10:11], v[0:1], off
	global_store_b64 v[12:13], v[2:3], off
	s_wait_dscnt 0x0
	s_clause 0x1
	global_store_b64 v[8:9], v[4:5], off
	global_store_b64 v[14:15], v[6:7], off
	v_mov_b32_e32 v9, v63
	v_lshlrev_b64_e32 v[4:5], 3, v[16:17]
	v_dual_mov_b32 v15, v63 :: v_dual_add_nc_u32 v6, 0x2ec, v62
	v_dual_mov_b32 v7, v63 :: v_dual_add_nc_u32 v14, 0x1800, v18
	ds_load_2addr_b64 v[0:3], v19 offset0:192 offset1:236
	v_add_nc_u32_e32 v8, 0x318, v62
	v_add_co_u32 v10, vcc_lo, v20, v4
	s_wait_alu 0xfffd
	v_add_co_ci_u32_e32 v11, vcc_lo, v21, v5, vcc_lo
	v_lshlrev_b64_e32 v[12:13], 3, v[6:7]
	ds_load_2addr_b64 v[4:7], v14 offset0:24 offset1:68
	v_add_nc_u32_e32 v14, 0x344, v62
	ds_load_b64 v[16:17], v18 offset:7040
	v_lshlrev_b64_e32 v[8:9], 3, v[8:9]
	v_add_nc_u32_e32 v62, 0x370, v62
	v_add_co_u32 v12, vcc_lo, v20, v12
	v_lshlrev_b64_e32 v[14:15], 3, v[14:15]
	s_wait_alu 0xfffd
	v_add_co_ci_u32_e32 v13, vcc_lo, v21, v13, vcc_lo
	v_add_co_u32 v8, vcc_lo, v20, v8
	v_lshlrev_b64_e32 v[18:19], 3, v[62:63]
	s_wait_alu 0xfffd
	v_add_co_ci_u32_e32 v9, vcc_lo, v21, v9, vcc_lo
	v_add_co_u32 v14, vcc_lo, v20, v14
	s_wait_alu 0xfffd
	v_add_co_ci_u32_e32 v15, vcc_lo, v21, v15, vcc_lo
	v_add_co_u32 v18, vcc_lo, v20, v18
	s_wait_alu 0xfffd
	v_add_co_ci_u32_e32 v19, vcc_lo, v21, v19, vcc_lo
	s_wait_dscnt 0x2
	s_clause 0x1
	global_store_b64 v[10:11], v[0:1], off
	global_store_b64 v[12:13], v[2:3], off
	s_wait_dscnt 0x1
	s_clause 0x1
	global_store_b64 v[8:9], v[4:5], off
	global_store_b64 v[14:15], v[6:7], off
	s_wait_dscnt 0x0
	global_store_b64 v[18:19], v[16:17], off
.LBB0_33:
	s_nop 0
	s_sendmsg sendmsg(MSG_DEALLOC_VGPRS)
	s_endpgm
	.section	.rodata,"a",@progbits
	.p2align	6, 0x0
	.amdhsa_kernel fft_rtc_fwd_len924_factors_2_2_3_7_11_wgs_44_tpt_44_halfLds_sp_op_CI_CI_unitstride_sbrr_C2R_dirReg
		.amdhsa_group_segment_fixed_size 0
		.amdhsa_private_segment_fixed_size 0
		.amdhsa_kernarg_size 104
		.amdhsa_user_sgpr_count 2
		.amdhsa_user_sgpr_dispatch_ptr 0
		.amdhsa_user_sgpr_queue_ptr 0
		.amdhsa_user_sgpr_kernarg_segment_ptr 1
		.amdhsa_user_sgpr_dispatch_id 0
		.amdhsa_user_sgpr_private_segment_size 0
		.amdhsa_wavefront_size32 1
		.amdhsa_uses_dynamic_stack 0
		.amdhsa_enable_private_segment 0
		.amdhsa_system_sgpr_workgroup_id_x 1
		.amdhsa_system_sgpr_workgroup_id_y 0
		.amdhsa_system_sgpr_workgroup_id_z 0
		.amdhsa_system_sgpr_workgroup_info 0
		.amdhsa_system_vgpr_workitem_id 0
		.amdhsa_next_free_vgpr 151
		.amdhsa_next_free_sgpr 39
		.amdhsa_reserve_vcc 1
		.amdhsa_float_round_mode_32 0
		.amdhsa_float_round_mode_16_64 0
		.amdhsa_float_denorm_mode_32 3
		.amdhsa_float_denorm_mode_16_64 3
		.amdhsa_fp16_overflow 0
		.amdhsa_workgroup_processor_mode 1
		.amdhsa_memory_ordered 1
		.amdhsa_forward_progress 0
		.amdhsa_round_robin_scheduling 0
		.amdhsa_exception_fp_ieee_invalid_op 0
		.amdhsa_exception_fp_denorm_src 0
		.amdhsa_exception_fp_ieee_div_zero 0
		.amdhsa_exception_fp_ieee_overflow 0
		.amdhsa_exception_fp_ieee_underflow 0
		.amdhsa_exception_fp_ieee_inexact 0
		.amdhsa_exception_int_div_zero 0
	.end_amdhsa_kernel
	.text
.Lfunc_end0:
	.size	fft_rtc_fwd_len924_factors_2_2_3_7_11_wgs_44_tpt_44_halfLds_sp_op_CI_CI_unitstride_sbrr_C2R_dirReg, .Lfunc_end0-fft_rtc_fwd_len924_factors_2_2_3_7_11_wgs_44_tpt_44_halfLds_sp_op_CI_CI_unitstride_sbrr_C2R_dirReg
                                        ; -- End function
	.section	.AMDGPU.csdata,"",@progbits
; Kernel info:
; codeLenInByte = 15288
; NumSgprs: 41
; NumVgprs: 151
; ScratchSize: 0
; MemoryBound: 0
; FloatMode: 240
; IeeeMode: 1
; LDSByteSize: 0 bytes/workgroup (compile time only)
; SGPRBlocks: 5
; VGPRBlocks: 18
; NumSGPRsForWavesPerEU: 41
; NumVGPRsForWavesPerEU: 151
; Occupancy: 9
; WaveLimiterHint : 1
; COMPUTE_PGM_RSRC2:SCRATCH_EN: 0
; COMPUTE_PGM_RSRC2:USER_SGPR: 2
; COMPUTE_PGM_RSRC2:TRAP_HANDLER: 0
; COMPUTE_PGM_RSRC2:TGID_X_EN: 1
; COMPUTE_PGM_RSRC2:TGID_Y_EN: 0
; COMPUTE_PGM_RSRC2:TGID_Z_EN: 0
; COMPUTE_PGM_RSRC2:TIDIG_COMP_CNT: 0
	.text
	.p2alignl 7, 3214868480
	.fill 96, 4, 3214868480
	.type	__hip_cuid_64d68d71c41fd4ee,@object ; @__hip_cuid_64d68d71c41fd4ee
	.section	.bss,"aw",@nobits
	.globl	__hip_cuid_64d68d71c41fd4ee
__hip_cuid_64d68d71c41fd4ee:
	.byte	0                               ; 0x0
	.size	__hip_cuid_64d68d71c41fd4ee, 1

	.ident	"AMD clang version 19.0.0git (https://github.com/RadeonOpenCompute/llvm-project roc-6.4.0 25133 c7fe45cf4b819c5991fe208aaa96edf142730f1d)"
	.section	".note.GNU-stack","",@progbits
	.addrsig
	.addrsig_sym __hip_cuid_64d68d71c41fd4ee
	.amdgpu_metadata
---
amdhsa.kernels:
  - .args:
      - .actual_access:  read_only
        .address_space:  global
        .offset:         0
        .size:           8
        .value_kind:     global_buffer
      - .offset:         8
        .size:           8
        .value_kind:     by_value
      - .actual_access:  read_only
        .address_space:  global
        .offset:         16
        .size:           8
        .value_kind:     global_buffer
      - .actual_access:  read_only
        .address_space:  global
        .offset:         24
        .size:           8
        .value_kind:     global_buffer
      - .actual_access:  read_only
        .address_space:  global
        .offset:         32
        .size:           8
        .value_kind:     global_buffer
      - .offset:         40
        .size:           8
        .value_kind:     by_value
      - .actual_access:  read_only
        .address_space:  global
        .offset:         48
        .size:           8
        .value_kind:     global_buffer
      - .actual_access:  read_only
        .address_space:  global
        .offset:         56
        .size:           8
        .value_kind:     global_buffer
      - .offset:         64
        .size:           4
        .value_kind:     by_value
      - .actual_access:  read_only
        .address_space:  global
        .offset:         72
        .size:           8
        .value_kind:     global_buffer
      - .actual_access:  read_only
        .address_space:  global
        .offset:         80
        .size:           8
        .value_kind:     global_buffer
      - .actual_access:  read_only
        .address_space:  global
        .offset:         88
        .size:           8
        .value_kind:     global_buffer
      - .actual_access:  write_only
        .address_space:  global
        .offset:         96
        .size:           8
        .value_kind:     global_buffer
    .group_segment_fixed_size: 0
    .kernarg_segment_align: 8
    .kernarg_segment_size: 104
    .language:       OpenCL C
    .language_version:
      - 2
      - 0
    .max_flat_workgroup_size: 44
    .name:           fft_rtc_fwd_len924_factors_2_2_3_7_11_wgs_44_tpt_44_halfLds_sp_op_CI_CI_unitstride_sbrr_C2R_dirReg
    .private_segment_fixed_size: 0
    .sgpr_count:     41
    .sgpr_spill_count: 0
    .symbol:         fft_rtc_fwd_len924_factors_2_2_3_7_11_wgs_44_tpt_44_halfLds_sp_op_CI_CI_unitstride_sbrr_C2R_dirReg.kd
    .uniform_work_group_size: 1
    .uses_dynamic_stack: false
    .vgpr_count:     151
    .vgpr_spill_count: 0
    .wavefront_size: 32
    .workgroup_processor_mode: 1
amdhsa.target:   amdgcn-amd-amdhsa--gfx1201
amdhsa.version:
  - 1
  - 2
...

	.end_amdgpu_metadata
